;; amdgpu-corpus repo=vllm-project/vllm kind=compiled arch=gfx90a opt=O3
	.text
	.amdgcn_target "amdgcn-amd-amdhsa--gfx90a"
	.amdhsa_code_object_version 6
	.p2align	2                               ; -- Begin function __ockl_fprintf_append_string_n
	.type	__ockl_fprintf_append_string_n,@function
__ockl_fprintf_append_string_n:         ; @__ockl_fprintf_append_string_n
; %bb.0:
	s_waitcnt vmcnt(0) expcnt(0) lgkmcnt(0)
	v_mov_b32_e32 v9, v3
	v_mov_b32_e32 v8, v2
	v_or_b32_e32 v2, 2, v0
	v_cmp_eq_u32_e32 vcc, 0, v6
	s_mov_b32 s22, 0
	v_cndmask_b32_e32 v0, v2, v0, vcc
	s_mov_b64 s[6:7], 0
	v_cmp_ne_u64_e32 vcc, 0, v[8:9]
	v_mbcnt_lo_u32_b32 v2, -1, 0
	s_and_saveexec_b64 s[4:5], vcc
	s_xor_b64 s[10:11], exec, s[4:5]
	s_cbranch_execz .LBB0_86
; %bb.1:
	s_load_dwordx2 s[12:13], s[8:9], 0x50
	v_and_b32_e32 v6, 2, v0
	v_mov_b32_e32 v31, 0
	v_and_b32_e32 v0, -3, v0
	v_mbcnt_hi_u32_b32 v32, -1, v2
	s_movk_i32 s23, 0xff1f
	v_mov_b32_e32 v12, 2
	v_mov_b32_e32 v13, 1
	s_branch .LBB0_3
.LBB0_2:                                ;   in Loop: Header=BB0_3 Depth=1
	s_or_b64 exec, exec, s[16:17]
	v_sub_co_u32_e32 v4, vcc, v4, v34
	v_subb_co_u32_e32 v5, vcc, v5, v35, vcc
	v_cmp_eq_u64_e32 vcc, 0, v[4:5]
	s_or_b64 s[6:7], vcc, s[6:7]
	v_add_co_u32_e32 v8, vcc, v8, v34
	v_addc_co_u32_e32 v9, vcc, v9, v35, vcc
	s_andn2_b64 exec, exec, s[6:7]
	s_cbranch_execz .LBB0_85
.LBB0_3:                                ; =>This Loop Header: Depth=1
                                        ;     Child Loop BB0_6 Depth 2
                                        ;     Child Loop BB0_14 Depth 2
	;; [unrolled: 1-line block ×11, first 2 shown]
	v_cmp_gt_u64_e32 vcc, 56, v[4:5]
	v_cndmask_b32_e32 v35, 0, v5, vcc
	v_cndmask_b32_e32 v34, 56, v4, vcc
	v_cmp_gt_u64_e32 vcc, 8, v[4:5]
                                        ; implicit-def: $vgpr2_vgpr3
                                        ; implicit-def: $sgpr14
	s_and_saveexec_b64 s[4:5], vcc
	s_xor_b64 s[4:5], exec, s[4:5]
	s_cbranch_execz .LBB0_9
; %bb.4:                                ;   in Loop: Header=BB0_3 Depth=1
	s_mov_b64 s[16:17], 0
	v_cmp_ne_u64_e32 vcc, 0, v[4:5]
	s_waitcnt vmcnt(0)
	v_pk_mov_b32 v[2:3], 0, 0
	s_and_saveexec_b64 s[14:15], vcc
	s_cbranch_execz .LBB0_8
; %bb.5:                                ;   in Loop: Header=BB0_3 Depth=1
	v_lshlrev_b64 v[10:11], 3, v[34:35]
	v_pk_mov_b32 v[2:3], 0, 0
	v_pk_mov_b32 v[14:15], v[8:9], v[8:9] op_sel:[0,1]
	s_mov_b64 s[18:19], 0
.LBB0_6:                                ;   Parent Loop BB0_3 Depth=1
                                        ; =>  This Inner Loop Header: Depth=2
	flat_load_ubyte v7, v[14:15]
	v_mov_b32_e32 v17, s22
	v_add_co_u32_e32 v14, vcc, 1, v14
	v_addc_co_u32_e32 v15, vcc, 0, v15, vcc
	s_waitcnt vmcnt(0) lgkmcnt(0)
	v_and_b32_e32 v16, 0xffff, v7
	v_lshlrev_b64 v[16:17], s18, v[16:17]
	s_add_u32 s18, s18, 8
	s_addc_u32 s19, s19, 0
	v_cmp_eq_u32_e32 vcc, s18, v10
	v_or_b32_e32 v3, v17, v3
	s_or_b64 s[16:17], vcc, s[16:17]
	v_or_b32_e32 v2, v16, v2
	s_andn2_b64 exec, exec, s[16:17]
	s_cbranch_execnz .LBB0_6
; %bb.7:                                ;   in Loop: Header=BB0_3 Depth=1
	s_or_b64 exec, exec, s[16:17]
.LBB0_8:                                ;   in Loop: Header=BB0_3 Depth=1
	s_or_b64 exec, exec, s[14:15]
	s_mov_b32 s14, 0
.LBB0_9:                                ;   in Loop: Header=BB0_3 Depth=1
	s_or_saveexec_b64 s[4:5], s[4:5]
	v_mov_b32_e32 v7, s14
	v_pk_mov_b32 v[10:11], v[8:9], v[8:9] op_sel:[0,1]
	s_xor_b64 exec, exec, s[4:5]
	s_cbranch_execz .LBB0_11
; %bb.10:                               ;   in Loop: Header=BB0_3 Depth=1
	s_waitcnt vmcnt(0)
	flat_load_dwordx2 v[2:3], v[8:9]
	v_add_u32_e32 v7, -8, v34
	s_waitcnt vmcnt(0) lgkmcnt(0)
	v_and_b32_e32 v10, 0xff, v3
	v_and_b32_e32 v11, 0xff00, v3
	;; [unrolled: 1-line block ×4, first 2 shown]
	v_or_b32_e32 v10, v10, v11
	v_or3_b32 v3, v10, v14, v3
	v_add_co_u32_e32 v10, vcc, 8, v8
	v_or3_b32 v2, v2, 0, 0
	v_addc_co_u32_e32 v11, vcc, 0, v9, vcc
.LBB0_11:                               ;   in Loop: Header=BB0_3 Depth=1
	s_or_b64 exec, exec, s[4:5]
	v_cmp_gt_u32_e32 vcc, 8, v7
                                        ; implicit-def: $vgpr14_vgpr15
                                        ; implicit-def: $sgpr14
	s_and_saveexec_b64 s[4:5], vcc
	s_xor_b64 s[4:5], exec, s[4:5]
	s_cbranch_execz .LBB0_17
; %bb.12:                               ;   in Loop: Header=BB0_3 Depth=1
	v_cmp_ne_u32_e32 vcc, 0, v7
	v_pk_mov_b32 v[14:15], 0, 0
	s_and_saveexec_b64 s[14:15], vcc
	s_cbranch_execz .LBB0_16
; %bb.13:                               ;   in Loop: Header=BB0_3 Depth=1
	s_mov_b64 s[16:17], 0
	v_pk_mov_b32 v[14:15], 0, 0
	s_mov_b64 s[18:19], 0
	s_mov_b64 s[20:21], 0
.LBB0_14:                               ;   Parent Loop BB0_3 Depth=1
                                        ; =>  This Inner Loop Header: Depth=2
	v_mov_b32_e32 v17, s21
	v_add_co_u32_e32 v16, vcc, s20, v10
	v_addc_co_u32_e32 v17, vcc, v11, v17, vcc
	flat_load_ubyte v16, v[16:17]
	s_add_u32 s20, s20, 1
	v_mov_b32_e32 v17, s22
	s_addc_u32 s21, s21, 0
	v_cmp_eq_u32_e32 vcc, s20, v7
	s_waitcnt vmcnt(0) lgkmcnt(0)
	v_and_b32_e32 v16, 0xffff, v16
	v_lshlrev_b64 v[16:17], s18, v[16:17]
	s_add_u32 s18, s18, 8
	s_addc_u32 s19, s19, 0
	v_or_b32_e32 v15, v17, v15
	s_or_b64 s[16:17], vcc, s[16:17]
	v_or_b32_e32 v14, v16, v14
	s_andn2_b64 exec, exec, s[16:17]
	s_cbranch_execnz .LBB0_14
; %bb.15:                               ;   in Loop: Header=BB0_3 Depth=1
	s_or_b64 exec, exec, s[16:17]
.LBB0_16:                               ;   in Loop: Header=BB0_3 Depth=1
	s_or_b64 exec, exec, s[14:15]
	s_mov_b32 s14, 0
                                        ; implicit-def: $vgpr7
.LBB0_17:                               ;   in Loop: Header=BB0_3 Depth=1
	s_or_saveexec_b64 s[4:5], s[4:5]
	v_mov_b32_e32 v18, s14
	s_xor_b64 exec, exec, s[4:5]
	s_cbranch_execz .LBB0_19
; %bb.18:                               ;   in Loop: Header=BB0_3 Depth=1
	flat_load_dwordx2 v[14:15], v[10:11]
	v_add_u32_e32 v18, -8, v7
	v_add_co_u32_e32 v10, vcc, 8, v10
	v_addc_co_u32_e32 v11, vcc, 0, v11, vcc
	s_waitcnt vmcnt(0) lgkmcnt(0)
	v_and_b32_e32 v7, 0xff, v15
	v_and_b32_e32 v16, 0xff00, v15
	;; [unrolled: 1-line block ×4, first 2 shown]
	v_or_b32_e32 v7, v7, v16
	v_or3_b32 v14, v14, 0, 0
	v_or3_b32 v15, v7, v17, v15
.LBB0_19:                               ;   in Loop: Header=BB0_3 Depth=1
	s_or_b64 exec, exec, s[4:5]
	v_cmp_gt_u32_e32 vcc, 8, v18
                                        ; implicit-def: $sgpr14
	s_and_saveexec_b64 s[4:5], vcc
	s_xor_b64 s[4:5], exec, s[4:5]
	s_cbranch_execz .LBB0_25
; %bb.20:                               ;   in Loop: Header=BB0_3 Depth=1
	v_cmp_ne_u32_e32 vcc, 0, v18
	v_pk_mov_b32 v[16:17], 0, 0
	s_and_saveexec_b64 s[14:15], vcc
	s_cbranch_execz .LBB0_24
; %bb.21:                               ;   in Loop: Header=BB0_3 Depth=1
	s_mov_b64 s[16:17], 0
	v_pk_mov_b32 v[16:17], 0, 0
	s_mov_b64 s[18:19], 0
	s_mov_b64 s[20:21], 0
.LBB0_22:                               ;   Parent Loop BB0_3 Depth=1
                                        ; =>  This Inner Loop Header: Depth=2
	v_mov_b32_e32 v7, s21
	v_add_co_u32_e32 v20, vcc, s20, v10
	v_addc_co_u32_e32 v21, vcc, v11, v7, vcc
	flat_load_ubyte v7, v[20:21]
	s_add_u32 s20, s20, 1
	v_mov_b32_e32 v21, s22
	s_addc_u32 s21, s21, 0
	v_cmp_eq_u32_e32 vcc, s20, v18
	s_waitcnt vmcnt(0) lgkmcnt(0)
	v_and_b32_e32 v20, 0xffff, v7
	v_lshlrev_b64 v[20:21], s18, v[20:21]
	s_add_u32 s18, s18, 8
	s_addc_u32 s19, s19, 0
	v_or_b32_e32 v17, v21, v17
	s_or_b64 s[16:17], vcc, s[16:17]
	v_or_b32_e32 v16, v20, v16
	s_andn2_b64 exec, exec, s[16:17]
	s_cbranch_execnz .LBB0_22
; %bb.23:                               ;   in Loop: Header=BB0_3 Depth=1
	s_or_b64 exec, exec, s[16:17]
.LBB0_24:                               ;   in Loop: Header=BB0_3 Depth=1
	s_or_b64 exec, exec, s[14:15]
	s_mov_b32 s14, 0
                                        ; implicit-def: $vgpr18
.LBB0_25:                               ;   in Loop: Header=BB0_3 Depth=1
	s_or_saveexec_b64 s[4:5], s[4:5]
	v_mov_b32_e32 v7, s14
	s_xor_b64 exec, exec, s[4:5]
	s_cbranch_execz .LBB0_27
; %bb.26:                               ;   in Loop: Header=BB0_3 Depth=1
	flat_load_dwordx2 v[16:17], v[10:11]
	v_add_u32_e32 v7, -8, v18
	v_add_co_u32_e32 v10, vcc, 8, v10
	v_addc_co_u32_e32 v11, vcc, 0, v11, vcc
	s_waitcnt vmcnt(0) lgkmcnt(0)
	v_and_b32_e32 v18, 0xff, v17
	v_and_b32_e32 v19, 0xff00, v17
	;; [unrolled: 1-line block ×4, first 2 shown]
	v_or_b32_e32 v18, v18, v19
	v_or3_b32 v16, v16, 0, 0
	v_or3_b32 v17, v18, v20, v17
.LBB0_27:                               ;   in Loop: Header=BB0_3 Depth=1
	s_or_b64 exec, exec, s[4:5]
	v_cmp_gt_u32_e32 vcc, 8, v7
                                        ; implicit-def: $vgpr18_vgpr19
                                        ; implicit-def: $sgpr14
	s_and_saveexec_b64 s[4:5], vcc
	s_xor_b64 s[4:5], exec, s[4:5]
	s_cbranch_execz .LBB0_33
; %bb.28:                               ;   in Loop: Header=BB0_3 Depth=1
	v_cmp_ne_u32_e32 vcc, 0, v7
	v_pk_mov_b32 v[18:19], 0, 0
	s_and_saveexec_b64 s[14:15], vcc
	s_cbranch_execz .LBB0_32
; %bb.29:                               ;   in Loop: Header=BB0_3 Depth=1
	s_mov_b64 s[16:17], 0
	v_pk_mov_b32 v[18:19], 0, 0
	s_mov_b64 s[18:19], 0
	s_mov_b64 s[20:21], 0
.LBB0_30:                               ;   Parent Loop BB0_3 Depth=1
                                        ; =>  This Inner Loop Header: Depth=2
	v_mov_b32_e32 v21, s21
	v_add_co_u32_e32 v20, vcc, s20, v10
	v_addc_co_u32_e32 v21, vcc, v11, v21, vcc
	flat_load_ubyte v20, v[20:21]
	s_add_u32 s20, s20, 1
	v_mov_b32_e32 v21, s22
	s_addc_u32 s21, s21, 0
	v_cmp_eq_u32_e32 vcc, s20, v7
	s_waitcnt vmcnt(0) lgkmcnt(0)
	v_and_b32_e32 v20, 0xffff, v20
	v_lshlrev_b64 v[20:21], s18, v[20:21]
	s_add_u32 s18, s18, 8
	s_addc_u32 s19, s19, 0
	v_or_b32_e32 v19, v21, v19
	s_or_b64 s[16:17], vcc, s[16:17]
	v_or_b32_e32 v18, v20, v18
	s_andn2_b64 exec, exec, s[16:17]
	s_cbranch_execnz .LBB0_30
; %bb.31:                               ;   in Loop: Header=BB0_3 Depth=1
	s_or_b64 exec, exec, s[16:17]
.LBB0_32:                               ;   in Loop: Header=BB0_3 Depth=1
	s_or_b64 exec, exec, s[14:15]
	s_mov_b32 s14, 0
                                        ; implicit-def: $vgpr7
.LBB0_33:                               ;   in Loop: Header=BB0_3 Depth=1
	s_or_saveexec_b64 s[4:5], s[4:5]
	v_mov_b32_e32 v22, s14
	s_xor_b64 exec, exec, s[4:5]
	s_cbranch_execz .LBB0_35
; %bb.34:                               ;   in Loop: Header=BB0_3 Depth=1
	flat_load_dwordx2 v[18:19], v[10:11]
	v_add_u32_e32 v22, -8, v7
	v_add_co_u32_e32 v10, vcc, 8, v10
	v_addc_co_u32_e32 v11, vcc, 0, v11, vcc
	s_waitcnt vmcnt(0) lgkmcnt(0)
	v_and_b32_e32 v7, 0xff, v19
	v_and_b32_e32 v20, 0xff00, v19
	;; [unrolled: 1-line block ×4, first 2 shown]
	v_or_b32_e32 v7, v7, v20
	v_or3_b32 v18, v18, 0, 0
	v_or3_b32 v19, v7, v21, v19
.LBB0_35:                               ;   in Loop: Header=BB0_3 Depth=1
	s_or_b64 exec, exec, s[4:5]
	v_cmp_gt_u32_e32 vcc, 8, v22
                                        ; implicit-def: $sgpr14
	s_and_saveexec_b64 s[4:5], vcc
	s_xor_b64 s[4:5], exec, s[4:5]
	s_cbranch_execz .LBB0_41
; %bb.36:                               ;   in Loop: Header=BB0_3 Depth=1
	v_cmp_ne_u32_e32 vcc, 0, v22
	v_pk_mov_b32 v[20:21], 0, 0
	s_and_saveexec_b64 s[14:15], vcc
	s_cbranch_execz .LBB0_40
; %bb.37:                               ;   in Loop: Header=BB0_3 Depth=1
	s_mov_b64 s[16:17], 0
	v_pk_mov_b32 v[20:21], 0, 0
	s_mov_b64 s[18:19], 0
	s_mov_b64 s[20:21], 0
.LBB0_38:                               ;   Parent Loop BB0_3 Depth=1
                                        ; =>  This Inner Loop Header: Depth=2
	v_mov_b32_e32 v7, s21
	v_add_co_u32_e32 v24, vcc, s20, v10
	v_addc_co_u32_e32 v25, vcc, v11, v7, vcc
	flat_load_ubyte v7, v[24:25]
	s_add_u32 s20, s20, 1
	v_mov_b32_e32 v25, s22
	s_addc_u32 s21, s21, 0
	v_cmp_eq_u32_e32 vcc, s20, v22
	s_waitcnt vmcnt(0) lgkmcnt(0)
	v_and_b32_e32 v24, 0xffff, v7
	v_lshlrev_b64 v[24:25], s18, v[24:25]
	s_add_u32 s18, s18, 8
	s_addc_u32 s19, s19, 0
	v_or_b32_e32 v21, v25, v21
	s_or_b64 s[16:17], vcc, s[16:17]
	v_or_b32_e32 v20, v24, v20
	s_andn2_b64 exec, exec, s[16:17]
	s_cbranch_execnz .LBB0_38
; %bb.39:                               ;   in Loop: Header=BB0_3 Depth=1
	s_or_b64 exec, exec, s[16:17]
.LBB0_40:                               ;   in Loop: Header=BB0_3 Depth=1
	s_or_b64 exec, exec, s[14:15]
	s_mov_b32 s14, 0
                                        ; implicit-def: $vgpr22
.LBB0_41:                               ;   in Loop: Header=BB0_3 Depth=1
	s_or_saveexec_b64 s[4:5], s[4:5]
	v_mov_b32_e32 v7, s14
	s_xor_b64 exec, exec, s[4:5]
	s_cbranch_execz .LBB0_43
; %bb.42:                               ;   in Loop: Header=BB0_3 Depth=1
	flat_load_dwordx2 v[20:21], v[10:11]
	v_add_u32_e32 v7, -8, v22
	v_add_co_u32_e32 v10, vcc, 8, v10
	v_addc_co_u32_e32 v11, vcc, 0, v11, vcc
	s_waitcnt vmcnt(0) lgkmcnt(0)
	v_and_b32_e32 v22, 0xff, v21
	v_and_b32_e32 v23, 0xff00, v21
	;; [unrolled: 1-line block ×4, first 2 shown]
	v_or_b32_e32 v22, v22, v23
	v_or3_b32 v20, v20, 0, 0
	v_or3_b32 v21, v22, v24, v21
.LBB0_43:                               ;   in Loop: Header=BB0_3 Depth=1
	s_or_b64 exec, exec, s[4:5]
	v_cmp_gt_u32_e32 vcc, 8, v7
                                        ; implicit-def: $vgpr22_vgpr23
                                        ; implicit-def: $sgpr14
	s_and_saveexec_b64 s[4:5], vcc
	s_xor_b64 s[4:5], exec, s[4:5]
	s_cbranch_execz .LBB0_49
; %bb.44:                               ;   in Loop: Header=BB0_3 Depth=1
	v_cmp_ne_u32_e32 vcc, 0, v7
	v_pk_mov_b32 v[22:23], 0, 0
	s_and_saveexec_b64 s[14:15], vcc
	s_cbranch_execz .LBB0_48
; %bb.45:                               ;   in Loop: Header=BB0_3 Depth=1
	s_mov_b64 s[16:17], 0
	v_pk_mov_b32 v[22:23], 0, 0
	s_mov_b64 s[18:19], 0
	s_mov_b64 s[20:21], 0
.LBB0_46:                               ;   Parent Loop BB0_3 Depth=1
                                        ; =>  This Inner Loop Header: Depth=2
	v_mov_b32_e32 v25, s21
	v_add_co_u32_e32 v24, vcc, s20, v10
	v_addc_co_u32_e32 v25, vcc, v11, v25, vcc
	flat_load_ubyte v24, v[24:25]
	s_add_u32 s20, s20, 1
	v_mov_b32_e32 v25, s22
	s_addc_u32 s21, s21, 0
	v_cmp_eq_u32_e32 vcc, s20, v7
	s_waitcnt vmcnt(0) lgkmcnt(0)
	v_and_b32_e32 v24, 0xffff, v24
	v_lshlrev_b64 v[24:25], s18, v[24:25]
	s_add_u32 s18, s18, 8
	s_addc_u32 s19, s19, 0
	v_or_b32_e32 v23, v25, v23
	s_or_b64 s[16:17], vcc, s[16:17]
	v_or_b32_e32 v22, v24, v22
	s_andn2_b64 exec, exec, s[16:17]
	s_cbranch_execnz .LBB0_46
; %bb.47:                               ;   in Loop: Header=BB0_3 Depth=1
	s_or_b64 exec, exec, s[16:17]
.LBB0_48:                               ;   in Loop: Header=BB0_3 Depth=1
	s_or_b64 exec, exec, s[14:15]
	s_mov_b32 s14, 0
                                        ; implicit-def: $vgpr7
.LBB0_49:                               ;   in Loop: Header=BB0_3 Depth=1
	s_or_saveexec_b64 s[4:5], s[4:5]
	v_mov_b32_e32 v26, s14
	s_xor_b64 exec, exec, s[4:5]
	s_cbranch_execz .LBB0_51
; %bb.50:                               ;   in Loop: Header=BB0_3 Depth=1
	flat_load_dwordx2 v[22:23], v[10:11]
	v_add_u32_e32 v26, -8, v7
	v_add_co_u32_e32 v10, vcc, 8, v10
	v_addc_co_u32_e32 v11, vcc, 0, v11, vcc
	s_waitcnt vmcnt(0) lgkmcnt(0)
	v_and_b32_e32 v7, 0xff, v23
	v_and_b32_e32 v24, 0xff00, v23
	v_and_b32_e32 v25, 0xff0000, v23
	v_and_b32_e32 v23, 0xff000000, v23
	v_or_b32_e32 v7, v7, v24
	v_or3_b32 v22, v22, 0, 0
	v_or3_b32 v23, v7, v25, v23
.LBB0_51:                               ;   in Loop: Header=BB0_3 Depth=1
	s_or_b64 exec, exec, s[4:5]
	v_cmp_gt_u32_e32 vcc, 8, v26
	s_and_saveexec_b64 s[4:5], vcc
	s_xor_b64 s[4:5], exec, s[4:5]
	s_cbranch_execz .LBB0_57
; %bb.52:                               ;   in Loop: Header=BB0_3 Depth=1
	v_cmp_ne_u32_e32 vcc, 0, v26
	v_pk_mov_b32 v[24:25], 0, 0
	s_and_saveexec_b64 s[14:15], vcc
	s_cbranch_execz .LBB0_56
; %bb.53:                               ;   in Loop: Header=BB0_3 Depth=1
	s_mov_b64 s[16:17], 0
	v_pk_mov_b32 v[24:25], 0, 0
	s_mov_b64 s[18:19], 0
.LBB0_54:                               ;   Parent Loop BB0_3 Depth=1
                                        ; =>  This Inner Loop Header: Depth=2
	flat_load_ubyte v7, v[10:11]
	v_mov_b32_e32 v29, s22
	v_add_co_u32_e32 v10, vcc, 1, v10
	v_add_u32_e32 v26, -1, v26
	v_addc_co_u32_e32 v11, vcc, 0, v11, vcc
	v_cmp_eq_u32_e32 vcc, 0, v26
	s_waitcnt vmcnt(0) lgkmcnt(0)
	v_and_b32_e32 v28, 0xffff, v7
	v_lshlrev_b64 v[28:29], s18, v[28:29]
	s_add_u32 s18, s18, 8
	s_addc_u32 s19, s19, 0
	v_or_b32_e32 v25, v29, v25
	s_or_b64 s[16:17], vcc, s[16:17]
	v_or_b32_e32 v24, v28, v24
	s_andn2_b64 exec, exec, s[16:17]
	s_cbranch_execnz .LBB0_54
; %bb.55:                               ;   in Loop: Header=BB0_3 Depth=1
	s_or_b64 exec, exec, s[16:17]
.LBB0_56:                               ;   in Loop: Header=BB0_3 Depth=1
	s_or_b64 exec, exec, s[14:15]
                                        ; implicit-def: $vgpr10_vgpr11
.LBB0_57:                               ;   in Loop: Header=BB0_3 Depth=1
	s_andn2_saveexec_b64 s[4:5], s[4:5]
	s_cbranch_execz .LBB0_59
; %bb.58:                               ;   in Loop: Header=BB0_3 Depth=1
	flat_load_dwordx2 v[10:11], v[10:11]
	s_waitcnt vmcnt(0) lgkmcnt(0)
	v_and_b32_e32 v7, 0xff, v11
	v_and_b32_e32 v24, 0xff00, v11
	;; [unrolled: 1-line block ×4, first 2 shown]
	v_or_b32_e32 v7, v7, v24
	v_or3_b32 v25, v7, v25, v11
	v_or3_b32 v24, v10, 0, 0
.LBB0_59:                               ;   in Loop: Header=BB0_3 Depth=1
	s_or_b64 exec, exec, s[4:5]
	v_readfirstlane_b32 s4, v32
	v_cmp_eq_u32_e64 s[4:5], s4, v32
	v_pk_mov_b32 v[10:11], 0, 0
	s_and_saveexec_b64 s[14:15], s[4:5]
	s_cbranch_execz .LBB0_65
; %bb.60:                               ;   in Loop: Header=BB0_3 Depth=1
	s_waitcnt lgkmcnt(0)
	global_load_dwordx2 v[28:29], v31, s[12:13] offset:24 glc
	s_waitcnt vmcnt(0)
	buffer_invl2
	buffer_wbinvl1_vol
	global_load_dwordx2 v[10:11], v31, s[12:13] offset:40
	global_load_dwordx2 v[26:27], v31, s[12:13]
	s_waitcnt vmcnt(1)
	v_and_b32_e32 v7, v10, v28
	v_and_b32_e32 v10, v11, v29
	v_mul_lo_u32 v10, v10, 24
	v_mul_hi_u32 v11, v7, 24
	v_mul_lo_u32 v7, v7, 24
	v_add_u32_e32 v11, v11, v10
	s_waitcnt vmcnt(0)
	v_add_co_u32_e32 v10, vcc, v26, v7
	v_addc_co_u32_e32 v11, vcc, v27, v11, vcc
	global_load_dwordx2 v[26:27], v[10:11], off glc
	s_waitcnt vmcnt(0)
	global_atomic_cmpswap_x2 v[10:11], v31, v[26:29], s[12:13] offset:24 glc
	s_waitcnt vmcnt(0)
	buffer_invl2
	buffer_wbinvl1_vol
	v_cmp_ne_u64_e32 vcc, v[10:11], v[28:29]
	s_and_saveexec_b64 s[16:17], vcc
	s_cbranch_execz .LBB0_64
; %bb.61:                               ;   in Loop: Header=BB0_3 Depth=1
	s_mov_b64 s[18:19], 0
.LBB0_62:                               ;   Parent Loop BB0_3 Depth=1
                                        ; =>  This Inner Loop Header: Depth=2
	s_sleep 1
	global_load_dwordx2 v[26:27], v31, s[12:13] offset:40
	global_load_dwordx2 v[36:37], v31, s[12:13]
	v_pk_mov_b32 v[28:29], v[10:11], v[10:11] op_sel:[0,1]
	s_waitcnt vmcnt(1)
	v_and_b32_e32 v10, v26, v28
	s_waitcnt vmcnt(0)
	v_mad_u64_u32 v[10:11], s[20:21], v10, 24, v[36:37]
	v_and_b32_e32 v7, v27, v29
	v_mov_b32_e32 v26, v11
	v_mad_u64_u32 v[26:27], s[20:21], v7, 24, v[26:27]
	v_mov_b32_e32 v11, v26
	global_load_dwordx2 v[26:27], v[10:11], off glc
	s_waitcnt vmcnt(0)
	global_atomic_cmpswap_x2 v[10:11], v31, v[26:29], s[12:13] offset:24 glc
	s_waitcnt vmcnt(0)
	buffer_invl2
	buffer_wbinvl1_vol
	v_cmp_eq_u64_e32 vcc, v[10:11], v[28:29]
	s_or_b64 s[18:19], vcc, s[18:19]
	s_andn2_b64 exec, exec, s[18:19]
	s_cbranch_execnz .LBB0_62
; %bb.63:                               ;   in Loop: Header=BB0_3 Depth=1
	s_or_b64 exec, exec, s[18:19]
.LBB0_64:                               ;   in Loop: Header=BB0_3 Depth=1
	s_or_b64 exec, exec, s[16:17]
.LBB0_65:                               ;   in Loop: Header=BB0_3 Depth=1
	s_or_b64 exec, exec, s[14:15]
	s_waitcnt lgkmcnt(0)
	global_load_dwordx2 v[36:37], v31, s[12:13] offset:40
	global_load_dwordx4 v[26:29], v31, s[12:13]
	v_readfirstlane_b32 s14, v10
	v_readfirstlane_b32 s15, v11
	s_mov_b64 s[16:17], exec
	s_waitcnt vmcnt(1)
	v_readfirstlane_b32 s18, v36
	v_readfirstlane_b32 s19, v37
	s_and_b64 s[18:19], s[14:15], s[18:19]
	s_mul_i32 s20, s19, 24
	s_mul_hi_u32 s21, s18, 24
	s_mul_i32 s24, s18, 24
	s_add_i32 s20, s21, s20
	v_mov_b32_e32 v7, s20
	s_waitcnt vmcnt(0)
	v_add_co_u32_e32 v36, vcc, s24, v26
	v_addc_co_u32_e32 v37, vcc, v27, v7, vcc
	s_and_saveexec_b64 s[20:21], s[4:5]
	s_cbranch_execz .LBB0_67
; %bb.66:                               ;   in Loop: Header=BB0_3 Depth=1
	v_pk_mov_b32 v[10:11], s[16:17], s[16:17] op_sel:[0,1]
	global_store_dwordx4 v[36:37], v[10:13], off offset:8
.LBB0_67:                               ;   in Loop: Header=BB0_3 Depth=1
	s_or_b64 exec, exec, s[20:21]
	s_lshl_b64 s[16:17], s[18:19], 12
	v_mov_b32_e32 v7, s17
	v_add_co_u32_e32 v10, vcc, s16, v28
	v_addc_co_u32_e32 v7, vcc, v29, v7, vcc
	v_or_b32_e32 v11, 0, v1
	v_cmp_lt_u64_e32 vcc, 56, v[4:5]
	v_or_b32_e32 v28, v0, v6
	v_cndmask_b32_e32 v1, v11, v1, vcc
	v_lshl_add_u32 v11, v34, 2, 28
	v_cndmask_b32_e32 v0, v28, v0, vcc
	v_and_b32_e32 v11, 0x1e0, v11
	v_and_or_b32 v0, v0, s23, v11
	v_lshlrev_b32_e32 v11, 6, v32
	v_readfirstlane_b32 s16, v10
	v_readfirstlane_b32 s17, v7
	s_nop 4
	global_store_dwordx4 v11, v[0:3], s[16:17]
	global_store_dwordx4 v11, v[14:17], s[16:17] offset:16
	global_store_dwordx4 v11, v[18:21], s[16:17] offset:32
	;; [unrolled: 1-line block ×3, first 2 shown]
	s_and_saveexec_b64 s[16:17], s[4:5]
	s_cbranch_execz .LBB0_75
; %bb.68:                               ;   in Loop: Header=BB0_3 Depth=1
	global_load_dwordx2 v[18:19], v31, s[12:13] offset:32 glc
	global_load_dwordx2 v[0:1], v31, s[12:13] offset:40
	v_mov_b32_e32 v16, s14
	v_mov_b32_e32 v17, s15
	s_waitcnt vmcnt(0)
	v_readfirstlane_b32 s18, v0
	v_readfirstlane_b32 s19, v1
	s_and_b64 s[18:19], s[18:19], s[14:15]
	s_mul_i32 s19, s19, 24
	s_mul_hi_u32 s20, s18, 24
	s_mul_i32 s18, s18, 24
	s_add_i32 s19, s20, s19
	v_mov_b32_e32 v0, s19
	v_add_co_u32_e32 v14, vcc, s18, v26
	v_addc_co_u32_e32 v15, vcc, v27, v0, vcc
	global_store_dwordx2 v[14:15], v[18:19], off
	buffer_wbl2
	s_waitcnt vmcnt(0)
	global_atomic_cmpswap_x2 v[2:3], v31, v[16:19], s[12:13] offset:32 glc
	s_waitcnt vmcnt(0)
	v_cmp_ne_u64_e32 vcc, v[2:3], v[18:19]
	s_and_saveexec_b64 s[18:19], vcc
	s_cbranch_execz .LBB0_71
; %bb.69:                               ;   in Loop: Header=BB0_3 Depth=1
	s_mov_b64 s[20:21], 0
.LBB0_70:                               ;   Parent Loop BB0_3 Depth=1
                                        ; =>  This Inner Loop Header: Depth=2
	s_sleep 1
	global_store_dwordx2 v[14:15], v[2:3], off
	v_mov_b32_e32 v0, s14
	v_mov_b32_e32 v1, s15
	buffer_wbl2
	s_waitcnt vmcnt(0)
	global_atomic_cmpswap_x2 v[0:1], v31, v[0:3], s[12:13] offset:32 glc
	s_waitcnt vmcnt(0)
	v_cmp_eq_u64_e32 vcc, v[0:1], v[2:3]
	s_or_b64 s[20:21], vcc, s[20:21]
	v_pk_mov_b32 v[2:3], v[0:1], v[0:1] op_sel:[0,1]
	s_andn2_b64 exec, exec, s[20:21]
	s_cbranch_execnz .LBB0_70
.LBB0_71:                               ;   in Loop: Header=BB0_3 Depth=1
	s_or_b64 exec, exec, s[18:19]
	global_load_dwordx2 v[0:1], v31, s[12:13] offset:16
	s_mov_b64 s[20:21], exec
	v_mbcnt_lo_u32_b32 v2, s20, 0
	v_mbcnt_hi_u32_b32 v2, s21, v2
	v_cmp_eq_u32_e32 vcc, 0, v2
	s_and_saveexec_b64 s[18:19], vcc
	s_cbranch_execz .LBB0_73
; %bb.72:                               ;   in Loop: Header=BB0_3 Depth=1
	s_bcnt1_i32_b64 s20, s[20:21]
	v_mov_b32_e32 v30, s20
	buffer_wbl2
	s_waitcnt vmcnt(0)
	global_atomic_add_x2 v[0:1], v[30:31], off offset:8
.LBB0_73:                               ;   in Loop: Header=BB0_3 Depth=1
	s_or_b64 exec, exec, s[18:19]
	s_waitcnt vmcnt(0)
	global_load_dwordx2 v[2:3], v[0:1], off offset:16
	s_waitcnt vmcnt(0)
	v_cmp_eq_u64_e32 vcc, 0, v[2:3]
	s_cbranch_vccnz .LBB0_75
; %bb.74:                               ;   in Loop: Header=BB0_3 Depth=1
	global_load_dword v30, v[0:1], off offset:24
	s_waitcnt vmcnt(0)
	v_and_b32_e32 v0, 0xffffff, v30
	v_readfirstlane_b32 m0, v0
	buffer_wbl2
	global_store_dwordx2 v[2:3], v[30:31], off
	s_sendmsg sendmsg(MSG_INTERRUPT)
.LBB0_75:                               ;   in Loop: Header=BB0_3 Depth=1
	s_or_b64 exec, exec, s[16:17]
	v_add_co_u32_e32 v0, vcc, v10, v11
	v_addc_co_u32_e32 v1, vcc, 0, v7, vcc
	s_branch .LBB0_79
.LBB0_76:                               ;   in Loop: Header=BB0_79 Depth=2
	s_or_b64 exec, exec, s[16:17]
	v_readfirstlane_b32 s16, v2
	s_cmp_eq_u32 s16, 0
	s_cbranch_scc1 .LBB0_78
; %bb.77:                               ;   in Loop: Header=BB0_79 Depth=2
	s_sleep 1
	s_cbranch_execnz .LBB0_79
	s_branch .LBB0_81
.LBB0_78:                               ;   in Loop: Header=BB0_3 Depth=1
	s_branch .LBB0_81
.LBB0_79:                               ;   Parent Loop BB0_3 Depth=1
                                        ; =>  This Inner Loop Header: Depth=2
	v_mov_b32_e32 v2, 1
	s_and_saveexec_b64 s[16:17], s[4:5]
	s_cbranch_execz .LBB0_76
; %bb.80:                               ;   in Loop: Header=BB0_79 Depth=2
	global_load_dword v2, v[36:37], off offset:20 glc
	s_waitcnt vmcnt(0)
	buffer_invl2
	buffer_wbinvl1_vol
	v_and_b32_e32 v2, 1, v2
	s_branch .LBB0_76
.LBB0_81:                               ;   in Loop: Header=BB0_3 Depth=1
	global_load_dwordx4 v[0:3], v[0:1], off
	s_and_saveexec_b64 s[16:17], s[4:5]
	s_cbranch_execz .LBB0_2
; %bb.82:                               ;   in Loop: Header=BB0_3 Depth=1
	global_load_dwordx2 v[2:3], v31, s[12:13] offset:40
	global_load_dwordx2 v[10:11], v31, s[12:13] offset:24 glc
	global_load_dwordx2 v[18:19], v31, s[12:13]
	v_mov_b32_e32 v7, s15
	s_waitcnt vmcnt(2)
	v_add_co_u32_e32 v17, vcc, 1, v2
	v_addc_co_u32_e32 v20, vcc, 0, v3, vcc
	v_add_co_u32_e32 v14, vcc, s14, v17
	v_addc_co_u32_e32 v15, vcc, v20, v7, vcc
	v_cmp_eq_u64_e32 vcc, 0, v[14:15]
	v_cndmask_b32_e32 v15, v15, v20, vcc
	v_cndmask_b32_e32 v14, v14, v17, vcc
	v_and_b32_e32 v3, v15, v3
	v_and_b32_e32 v2, v14, v2
	v_mul_lo_u32 v3, v3, 24
	v_mul_hi_u32 v7, v2, 24
	v_mul_lo_u32 v2, v2, 24
	v_add_u32_e32 v3, v7, v3
	s_waitcnt vmcnt(0)
	v_add_co_u32_e32 v2, vcc, v18, v2
	v_addc_co_u32_e32 v3, vcc, v19, v3, vcc
	v_mov_b32_e32 v16, v10
	global_store_dwordx2 v[2:3], v[10:11], off
	v_mov_b32_e32 v17, v11
	buffer_wbl2
	s_waitcnt vmcnt(0)
	global_atomic_cmpswap_x2 v[16:17], v31, v[14:17], s[12:13] offset:24 glc
	s_waitcnt vmcnt(0)
	v_cmp_ne_u64_e32 vcc, v[16:17], v[10:11]
	s_and_b64 exec, exec, vcc
	s_cbranch_execz .LBB0_2
; %bb.83:                               ;   in Loop: Header=BB0_3 Depth=1
	s_mov_b64 s[4:5], 0
.LBB0_84:                               ;   Parent Loop BB0_3 Depth=1
                                        ; =>  This Inner Loop Header: Depth=2
	s_sleep 1
	global_store_dwordx2 v[2:3], v[16:17], off
	buffer_wbl2
	s_waitcnt vmcnt(0)
	global_atomic_cmpswap_x2 v[10:11], v31, v[14:17], s[12:13] offset:24 glc
	s_waitcnt vmcnt(0)
	v_cmp_eq_u64_e32 vcc, v[10:11], v[16:17]
	s_or_b64 s[4:5], vcc, s[4:5]
	v_pk_mov_b32 v[16:17], v[10:11], v[10:11] op_sel:[0,1]
	s_andn2_b64 exec, exec, s[4:5]
	s_cbranch_execnz .LBB0_84
	s_branch .LBB0_2
.LBB0_85:
	s_or_b64 exec, exec, s[6:7]
                                        ; implicit-def: $vgpr0
                                        ; implicit-def: $vgpr1
                                        ; implicit-def: $vgpr2
.LBB0_86:
	s_andn2_saveexec_b64 s[6:7], s[10:11]
	s_cbranch_execz .LBB0_109
; %bb.87:
	s_load_dwordx2 s[8:9], s[8:9], 0x50
	s_waitcnt vmcnt(0)
	v_mbcnt_hi_u32_b32 v3, -1, v2
	v_readfirstlane_b32 s4, v3
	v_cmp_eq_u32_e64 s[4:5], s4, v3
	v_pk_mov_b32 v[8:9], 0, 0
	s_and_saveexec_b64 s[10:11], s[4:5]
	s_cbranch_execz .LBB0_93
; %bb.88:
	v_mov_b32_e32 v2, 0
	s_waitcnt lgkmcnt(0)
	global_load_dwordx2 v[6:7], v2, s[8:9] offset:24 glc
	s_waitcnt vmcnt(0)
	buffer_invl2
	buffer_wbinvl1_vol
	global_load_dwordx2 v[4:5], v2, s[8:9] offset:40
	global_load_dwordx2 v[8:9], v2, s[8:9]
	s_waitcnt vmcnt(1)
	v_and_b32_e32 v4, v4, v6
	v_and_b32_e32 v5, v5, v7
	v_mul_lo_u32 v5, v5, 24
	v_mul_hi_u32 v10, v4, 24
	v_mul_lo_u32 v4, v4, 24
	v_add_u32_e32 v5, v10, v5
	s_waitcnt vmcnt(0)
	v_add_co_u32_e32 v4, vcc, v8, v4
	v_addc_co_u32_e32 v5, vcc, v9, v5, vcc
	global_load_dwordx2 v[4:5], v[4:5], off glc
	s_waitcnt vmcnt(0)
	global_atomic_cmpswap_x2 v[8:9], v2, v[4:7], s[8:9] offset:24 glc
	s_waitcnt vmcnt(0)
	buffer_invl2
	buffer_wbinvl1_vol
	v_cmp_ne_u64_e32 vcc, v[8:9], v[6:7]
	s_and_saveexec_b64 s[12:13], vcc
	s_cbranch_execz .LBB0_92
; %bb.89:
	s_mov_b64 s[14:15], 0
.LBB0_90:                               ; =>This Inner Loop Header: Depth=1
	s_sleep 1
	global_load_dwordx2 v[4:5], v2, s[8:9] offset:40
	global_load_dwordx2 v[10:11], v2, s[8:9]
	v_pk_mov_b32 v[6:7], v[8:9], v[8:9] op_sel:[0,1]
	s_waitcnt vmcnt(1)
	v_and_b32_e32 v4, v4, v6
	v_and_b32_e32 v9, v5, v7
	s_waitcnt vmcnt(0)
	v_mad_u64_u32 v[4:5], s[16:17], v4, 24, v[10:11]
	v_mov_b32_e32 v8, v5
	v_mad_u64_u32 v[8:9], s[16:17], v9, 24, v[8:9]
	v_mov_b32_e32 v5, v8
	global_load_dwordx2 v[4:5], v[4:5], off glc
	s_waitcnt vmcnt(0)
	global_atomic_cmpswap_x2 v[8:9], v2, v[4:7], s[8:9] offset:24 glc
	s_waitcnt vmcnt(0)
	buffer_invl2
	buffer_wbinvl1_vol
	v_cmp_eq_u64_e32 vcc, v[8:9], v[6:7]
	s_or_b64 s[14:15], vcc, s[14:15]
	s_andn2_b64 exec, exec, s[14:15]
	s_cbranch_execnz .LBB0_90
; %bb.91:
	s_or_b64 exec, exec, s[14:15]
.LBB0_92:
	s_or_b64 exec, exec, s[12:13]
.LBB0_93:
	s_or_b64 exec, exec, s[10:11]
	v_mov_b32_e32 v2, 0
	s_waitcnt lgkmcnt(0)
	global_load_dwordx2 v[10:11], v2, s[8:9] offset:40
	global_load_dwordx4 v[4:7], v2, s[8:9]
	v_readfirstlane_b32 s10, v8
	v_readfirstlane_b32 s11, v9
	s_mov_b64 s[12:13], exec
	s_waitcnt vmcnt(1)
	v_readfirstlane_b32 s14, v10
	v_readfirstlane_b32 s15, v11
	s_and_b64 s[14:15], s[10:11], s[14:15]
	s_mul_i32 s16, s15, 24
	s_mul_hi_u32 s17, s14, 24
	s_mul_i32 s18, s14, 24
	s_add_i32 s16, s17, s16
	v_mov_b32_e32 v9, s16
	s_waitcnt vmcnt(0)
	v_add_co_u32_e32 v8, vcc, s18, v4
	v_addc_co_u32_e32 v9, vcc, v5, v9, vcc
	s_and_saveexec_b64 s[16:17], s[4:5]
	s_cbranch_execz .LBB0_95
; %bb.94:
	v_pk_mov_b32 v[10:11], s[12:13], s[12:13] op_sel:[0,1]
	v_mov_b32_e32 v12, 2
	v_mov_b32_e32 v13, 1
	global_store_dwordx4 v[8:9], v[10:13], off offset:8
.LBB0_95:
	s_or_b64 exec, exec, s[16:17]
	s_lshl_b64 s[12:13], s[14:15], 12
	v_mov_b32_e32 v10, s13
	v_add_co_u32_e32 v6, vcc, s12, v6
	s_movk_i32 s12, 0xff1f
	v_addc_co_u32_e32 v7, vcc, v7, v10, vcc
	v_and_or_b32 v0, v0, s12, 32
	s_mov_b32 s12, 0
	v_lshlrev_b32_e32 v10, 6, v3
	v_mov_b32_e32 v3, v2
	v_readfirstlane_b32 s16, v6
	v_readfirstlane_b32 s17, v7
	s_mov_b32 s13, s12
	s_mov_b32 s14, s12
	;; [unrolled: 1-line block ×3, first 2 shown]
	s_nop 1
	global_store_dwordx4 v10, v[0:3], s[16:17]
	s_nop 0
	v_pk_mov_b32 v[0:1], s[12:13], s[12:13] op_sel:[0,1]
	v_pk_mov_b32 v[2:3], s[14:15], s[14:15] op_sel:[0,1]
	global_store_dwordx4 v10, v[0:3], s[16:17] offset:16
	global_store_dwordx4 v10, v[0:3], s[16:17] offset:32
	;; [unrolled: 1-line block ×3, first 2 shown]
	s_and_saveexec_b64 s[12:13], s[4:5]
	s_cbranch_execz .LBB0_103
; %bb.96:
	v_mov_b32_e32 v6, 0
	global_load_dwordx2 v[12:13], v6, s[8:9] offset:32 glc
	global_load_dwordx2 v[0:1], v6, s[8:9] offset:40
	v_mov_b32_e32 v10, s10
	v_mov_b32_e32 v11, s11
	s_waitcnt vmcnt(0)
	v_and_b32_e32 v0, s10, v0
	v_and_b32_e32 v1, s11, v1
	v_mul_lo_u32 v1, v1, 24
	v_mul_hi_u32 v2, v0, 24
	v_mul_lo_u32 v0, v0, 24
	v_add_u32_e32 v1, v2, v1
	v_add_co_u32_e32 v4, vcc, v4, v0
	v_addc_co_u32_e32 v5, vcc, v5, v1, vcc
	global_store_dwordx2 v[4:5], v[12:13], off
	buffer_wbl2
	s_waitcnt vmcnt(0)
	global_atomic_cmpswap_x2 v[2:3], v6, v[10:13], s[8:9] offset:32 glc
	s_waitcnt vmcnt(0)
	v_cmp_ne_u64_e32 vcc, v[2:3], v[12:13]
	s_and_saveexec_b64 s[14:15], vcc
	s_cbranch_execz .LBB0_99
; %bb.97:
	s_mov_b64 s[16:17], 0
.LBB0_98:                               ; =>This Inner Loop Header: Depth=1
	s_sleep 1
	global_store_dwordx2 v[4:5], v[2:3], off
	v_mov_b32_e32 v0, s10
	v_mov_b32_e32 v1, s11
	buffer_wbl2
	s_waitcnt vmcnt(0)
	global_atomic_cmpswap_x2 v[0:1], v6, v[0:3], s[8:9] offset:32 glc
	s_waitcnt vmcnt(0)
	v_cmp_eq_u64_e32 vcc, v[0:1], v[2:3]
	s_or_b64 s[16:17], vcc, s[16:17]
	v_pk_mov_b32 v[2:3], v[0:1], v[0:1] op_sel:[0,1]
	s_andn2_b64 exec, exec, s[16:17]
	s_cbranch_execnz .LBB0_98
.LBB0_99:
	s_or_b64 exec, exec, s[14:15]
	v_mov_b32_e32 v3, 0
	global_load_dwordx2 v[0:1], v3, s[8:9] offset:16
	s_mov_b64 s[14:15], exec
	v_mbcnt_lo_u32_b32 v2, s14, 0
	v_mbcnt_hi_u32_b32 v2, s15, v2
	v_cmp_eq_u32_e32 vcc, 0, v2
	s_and_saveexec_b64 s[16:17], vcc
	s_cbranch_execz .LBB0_101
; %bb.100:
	s_bcnt1_i32_b64 s14, s[14:15]
	v_mov_b32_e32 v2, s14
	buffer_wbl2
	s_waitcnt vmcnt(0)
	global_atomic_add_x2 v[0:1], v[2:3], off offset:8
.LBB0_101:
	s_or_b64 exec, exec, s[16:17]
	s_waitcnt vmcnt(0)
	global_load_dwordx2 v[2:3], v[0:1], off offset:16
	s_waitcnt vmcnt(0)
	v_cmp_eq_u64_e32 vcc, 0, v[2:3]
	s_cbranch_vccnz .LBB0_103
; %bb.102:
	global_load_dword v0, v[0:1], off offset:24
	v_mov_b32_e32 v1, 0
	buffer_wbl2
	s_waitcnt vmcnt(0)
	global_store_dwordx2 v[2:3], v[0:1], off
	v_and_b32_e32 v0, 0xffffff, v0
	v_readfirstlane_b32 m0, v0
	s_sendmsg sendmsg(MSG_INTERRUPT)
.LBB0_103:
	s_or_b64 exec, exec, s[12:13]
	s_branch .LBB0_107
.LBB0_104:                              ;   in Loop: Header=BB0_107 Depth=1
	s_or_b64 exec, exec, s[12:13]
	v_readfirstlane_b32 s12, v0
	s_cmp_eq_u32 s12, 0
	s_cbranch_scc1 .LBB0_106
; %bb.105:                              ;   in Loop: Header=BB0_107 Depth=1
	s_sleep 1
	s_cbranch_execnz .LBB0_107
	s_branch .LBB0_110
.LBB0_106:
	s_branch .LBB0_110
.LBB0_107:                              ; =>This Inner Loop Header: Depth=1
	v_mov_b32_e32 v0, 1
	s_and_saveexec_b64 s[12:13], s[4:5]
	s_cbranch_execz .LBB0_104
; %bb.108:                              ;   in Loop: Header=BB0_107 Depth=1
	global_load_dword v0, v[8:9], off offset:20 glc
	s_waitcnt vmcnt(0)
	buffer_invl2
	buffer_wbinvl1_vol
	v_and_b32_e32 v0, 1, v0
	s_branch .LBB0_104
.LBB0_109:
	s_or_b64 exec, exec, s[6:7]
	s_waitcnt vmcnt(0) lgkmcnt(0)
	s_setpc_b64 s[30:31]
.LBB0_110:
	s_and_saveexec_b64 s[12:13], s[4:5]
	s_cbranch_execz .LBB0_113
; %bb.111:
	v_mov_b32_e32 v6, 0
	global_load_dwordx2 v[4:5], v6, s[8:9] offset:40
	global_load_dwordx2 v[8:9], v6, s[8:9] offset:24 glc
	global_load_dwordx2 v[10:11], v6, s[8:9]
	v_mov_b32_e32 v1, s11
	s_mov_b64 s[4:5], 0
	s_waitcnt vmcnt(2)
	v_add_co_u32_e32 v3, vcc, 1, v4
	v_addc_co_u32_e32 v7, vcc, 0, v5, vcc
	v_add_co_u32_e32 v0, vcc, s10, v3
	v_addc_co_u32_e32 v1, vcc, v7, v1, vcc
	v_cmp_eq_u64_e32 vcc, 0, v[0:1]
	v_cndmask_b32_e32 v1, v1, v7, vcc
	v_cndmask_b32_e32 v0, v0, v3, vcc
	v_and_b32_e32 v3, v1, v5
	v_and_b32_e32 v4, v0, v4
	v_mul_lo_u32 v3, v3, 24
	v_mul_hi_u32 v5, v4, 24
	v_mul_lo_u32 v4, v4, 24
	v_add_u32_e32 v3, v5, v3
	s_waitcnt vmcnt(0)
	v_add_co_u32_e32 v4, vcc, v10, v4
	v_addc_co_u32_e32 v5, vcc, v11, v3, vcc
	v_mov_b32_e32 v2, v8
	global_store_dwordx2 v[4:5], v[8:9], off
	v_mov_b32_e32 v3, v9
	buffer_wbl2
	s_waitcnt vmcnt(0)
	global_atomic_cmpswap_x2 v[2:3], v6, v[0:3], s[8:9] offset:24 glc
	s_waitcnt vmcnt(0)
	v_cmp_ne_u64_e32 vcc, v[2:3], v[8:9]
	s_and_b64 exec, exec, vcc
	s_cbranch_execz .LBB0_113
.LBB0_112:                              ; =>This Inner Loop Header: Depth=1
	s_sleep 1
	global_store_dwordx2 v[4:5], v[2:3], off
	buffer_wbl2
	s_waitcnt vmcnt(0)
	global_atomic_cmpswap_x2 v[8:9], v6, v[0:3], s[8:9] offset:24 glc
	s_waitcnt vmcnt(0)
	v_cmp_eq_u64_e32 vcc, v[8:9], v[2:3]
	s_or_b64 s[4:5], vcc, s[4:5]
	v_pk_mov_b32 v[2:3], v[8:9], v[8:9] op_sel:[0,1]
	s_andn2_b64 exec, exec, s[4:5]
	s_cbranch_execnz .LBB0_112
.LBB0_113:
	s_or_b64 exec, exec, s[12:13]
	s_or_b64 exec, exec, s[6:7]
	s_waitcnt vmcnt(0) lgkmcnt(0)
	s_setpc_b64 s[30:31]
.Lfunc_end0:
	.size	__ockl_fprintf_append_string_n, .Lfunc_end0-__ockl_fprintf_append_string_n
                                        ; -- End function
	.section	.AMDGPU.csdata,"",@progbits
; Function info:
; codeLenInByte = 4372
; NumSgprs: 36
; NumVgprs: 38
; NumAgprs: 0
; TotalNumVgprs: 38
; ScratchSize: 0
; MemoryBound: 0
	.text
	.p2align	2                               ; -- Begin function __assert_fail
	.type	__assert_fail,@function
__assert_fail:                          ; @__assert_fail
; %bb.0:
	s_waitcnt vmcnt(0) expcnt(0) lgkmcnt(0)
	s_mov_b32 s25, s33
	s_mov_b32 s33, s32
	s_or_saveexec_b64 s[4:5], -1
	buffer_store_dword v40, off, s[0:3], s33 offset:48 ; 4-byte Folded Spill
	s_mov_b64 exec, s[4:5]
	v_writelane_b32 v40, s30, 0
	s_addk_i32 s32, 0x1000
	v_writelane_b32 v40, s31, 1
	s_getpc_b64 s[4:5]
	s_add_u32 s4, s4, __const.__assert_fail.fmt@rel32@lo+4
	s_addc_u32 s5, s5, __const.__assert_fail.fmt@rel32@hi+12
	s_load_dwordx4 s[4:7], s[4:5], 0x0
	v_mov_b32_e32 v6, v0
	v_mov_b32_e32 v0, 0xa2e
	buffer_store_short v0, off, s[0:3], s33 offset:44
	v_mov_b32_e32 v0, 0x64656c69
	buffer_store_dword v0, off, s[0:3], s33 offset:40
	v_mov_b32_e32 v0, 0x61662027
	s_getpc_b64 s[10:11]
	s_add_u32 s10, s10, __const.__assert_fail.fmt@rel32@lo+20
	s_addc_u32 s11, s11, __const.__assert_fail.fmt@rel32@hi+28
	buffer_store_dword v0, off, s[0:3], s33 offset:36
	v_mov_b32_e32 v0, 0x73256020
	s_load_dwordx4 s[12:15], s[10:11], 0x0
	buffer_store_dword v0, off, s[0:3], s33 offset:32
	s_waitcnt lgkmcnt(0)
	v_mov_b32_e32 v0, s7
	buffer_store_dword v0, off, s[0:3], s33 offset:12
	v_mov_b32_e32 v0, s6
	buffer_store_dword v0, off, s[0:3], s33 offset:8
	v_mov_b32_e32 v0, s5
	buffer_store_dword v0, off, s[0:3], s33 offset:4
	v_mov_b32_e32 v0, s4
	buffer_store_dword v0, off, s[0:3], s33
	v_mov_b32_e32 v0, s15
	buffer_store_dword v0, off, s[0:3], s33 offset:28
	v_mov_b32_e32 v0, s14
	buffer_store_dword v0, off, s[0:3], s33 offset:24
	;; [unrolled: 2-line block ×3, first 2 shown]
	v_mov_b32_e32 v0, s12
	s_load_dwordx2 s[10:11], s[8:9], 0x50
	buffer_store_dword v0, off, s[0:3], s33 offset:16
	v_mbcnt_lo_u32_b32 v0, -1, 0
	v_mbcnt_hi_u32_b32 v49, -1, v0
	v_readfirstlane_b32 s4, v49
	v_mov_b32_e32 v37, v4
	v_mov_b32_e32 v36, v3
	;; [unrolled: 1-line block ×4, first 2 shown]
	v_cmp_eq_u32_e64 s[4:5], s4, v49
	v_pk_mov_b32 v[0:1], 0, 0
	buffer_store_byte v3, off, s[0:3], s33 offset:46
	s_and_saveexec_b64 s[6:7], s[4:5]
	s_cbranch_execz .LBB1_6
; %bb.1:
	s_waitcnt lgkmcnt(0)
	global_load_dwordx2 v[10:11], v3, s[10:11] offset:24 glc
	s_waitcnt vmcnt(0)
	buffer_invl2
	buffer_wbinvl1_vol
	global_load_dwordx2 v[0:1], v3, s[10:11] offset:40
	global_load_dwordx2 v[4:5], v3, s[10:11]
	s_waitcnt vmcnt(1)
	v_and_b32_e32 v0, v0, v10
	v_and_b32_e32 v1, v1, v11
	v_mul_lo_u32 v1, v1, 24
	v_mul_hi_u32 v8, v0, 24
	v_mul_lo_u32 v0, v0, 24
	v_add_u32_e32 v1, v8, v1
	s_waitcnt vmcnt(0)
	v_add_co_u32_e32 v0, vcc, v4, v0
	v_addc_co_u32_e32 v1, vcc, v5, v1, vcc
	global_load_dwordx2 v[8:9], v[0:1], off glc
	s_waitcnt vmcnt(0)
	global_atomic_cmpswap_x2 v[0:1], v3, v[8:11], s[10:11] offset:24 glc
	s_waitcnt vmcnt(0)
	buffer_invl2
	buffer_wbinvl1_vol
	v_cmp_ne_u64_e32 vcc, v[0:1], v[10:11]
	s_and_saveexec_b64 s[12:13], vcc
	s_cbranch_execz .LBB1_5
; %bb.2:
	s_mov_b64 s[14:15], 0
.LBB1_3:                                ; =>This Inner Loop Header: Depth=1
	s_sleep 1
	global_load_dwordx2 v[4:5], v3, s[10:11] offset:40
	global_load_dwordx2 v[8:9], v3, s[10:11]
	v_pk_mov_b32 v[10:11], v[0:1], v[0:1] op_sel:[0,1]
	s_waitcnt vmcnt(1)
	v_and_b32_e32 v0, v4, v10
	s_waitcnt vmcnt(0)
	v_mad_u64_u32 v[0:1], s[16:17], v0, 24, v[8:9]
	v_and_b32_e32 v5, v5, v11
	v_mov_b32_e32 v4, v1
	v_mad_u64_u32 v[4:5], s[16:17], v5, 24, v[4:5]
	v_mov_b32_e32 v1, v4
	global_load_dwordx2 v[8:9], v[0:1], off glc
	s_waitcnt vmcnt(0)
	global_atomic_cmpswap_x2 v[0:1], v3, v[8:11], s[10:11] offset:24 glc
	s_waitcnt vmcnt(0)
	buffer_invl2
	buffer_wbinvl1_vol
	v_cmp_eq_u64_e32 vcc, v[0:1], v[10:11]
	s_or_b64 s[14:15], vcc, s[14:15]
	s_andn2_b64 exec, exec, s[14:15]
	s_cbranch_execnz .LBB1_3
; %bb.4:
	s_or_b64 exec, exec, s[14:15]
.LBB1_5:
	s_or_b64 exec, exec, s[12:13]
.LBB1_6:
	s_or_b64 exec, exec, s[6:7]
	s_waitcnt lgkmcnt(0)
	global_load_dwordx2 v[4:5], v3, s[10:11] offset:40
	global_load_dwordx4 v[8:11], v3, s[10:11]
	v_readfirstlane_b32 s6, v0
	v_readfirstlane_b32 s7, v1
	s_mov_b64 s[12:13], exec
	s_waitcnt vmcnt(1)
	v_readfirstlane_b32 s14, v4
	v_readfirstlane_b32 s15, v5
	s_and_b64 s[14:15], s[6:7], s[14:15]
	s_mul_i32 s16, s15, 24
	s_mul_hi_u32 s17, s14, 24
	s_mul_i32 s18, s14, 24
	s_add_i32 s16, s17, s16
	v_mov_b32_e32 v1, s16
	s_waitcnt vmcnt(0)
	v_add_co_u32_e32 v0, vcc, s18, v8
	v_addc_co_u32_e32 v1, vcc, v9, v1, vcc
	s_and_saveexec_b64 s[16:17], s[4:5]
	s_cbranch_execz .LBB1_8
; %bb.7:
	v_pk_mov_b32 v[12:13], s[12:13], s[12:13] op_sel:[0,1]
	v_mov_b32_e32 v14, 2
	v_mov_b32_e32 v15, 1
	global_store_dwordx4 v[0:1], v[12:15], off offset:8
.LBB1_8:
	s_or_b64 exec, exec, s[16:17]
	s_lshl_b64 s[12:13], s[14:15], 12
	v_mov_b32_e32 v3, s13
	v_add_co_u32_e32 v14, vcc, s12, v10
	v_addc_co_u32_e32 v3, vcc, v11, v3, vcc
	s_mov_b32 s12, 0
	v_mov_b32_e32 v11, 0
	v_lshlrev_b32_e32 v48, 6, v49
	v_mov_b32_e32 v10, 33
	v_mov_b32_e32 v12, 1
	;; [unrolled: 1-line block ×3, first 2 shown]
	v_readfirstlane_b32 s16, v14
	v_readfirstlane_b32 s17, v3
	s_mov_b32 s13, s12
	v_add_co_u32_e32 v4, vcc, v14, v48
	s_mov_b32 s14, s12
	s_mov_b32 s15, s12
	s_nop 0
	global_store_dwordx4 v48, v[10:13], s[16:17]
	v_addc_co_u32_e32 v5, vcc, 0, v3, vcc
	v_pk_mov_b32 v[12:13], s[12:13], s[12:13] op_sel:[0,1]
	v_pk_mov_b32 v[14:15], s[14:15], s[14:15] op_sel:[0,1]
	global_store_dwordx4 v48, v[12:15], s[16:17] offset:16
	global_store_dwordx4 v48, v[12:15], s[16:17] offset:32
	;; [unrolled: 1-line block ×3, first 2 shown]
	s_and_saveexec_b64 s[12:13], s[4:5]
	s_cbranch_execz .LBB1_16
; %bb.9:
	global_load_dwordx2 v[16:17], v11, s[10:11] offset:32 glc
	global_load_dwordx2 v[12:13], v11, s[10:11] offset:40
	v_mov_b32_e32 v14, s6
	v_mov_b32_e32 v15, s7
	s_waitcnt vmcnt(0)
	v_and_b32_e32 v3, s6, v12
	v_and_b32_e32 v10, s7, v13
	v_mul_lo_u32 v10, v10, 24
	v_mul_hi_u32 v12, v3, 24
	v_mul_lo_u32 v3, v3, 24
	v_add_u32_e32 v10, v12, v10
	v_add_co_u32_e32 v8, vcc, v8, v3
	v_addc_co_u32_e32 v9, vcc, v9, v10, vcc
	global_store_dwordx2 v[8:9], v[16:17], off
	buffer_wbl2
	s_waitcnt vmcnt(0)
	global_atomic_cmpswap_x2 v[14:15], v11, v[14:17], s[10:11] offset:32 glc
	s_waitcnt vmcnt(0)
	v_cmp_ne_u64_e32 vcc, v[14:15], v[16:17]
	s_and_saveexec_b64 s[14:15], vcc
	s_cbranch_execz .LBB1_12
; %bb.10:
	s_mov_b64 s[16:17], 0
.LBB1_11:                               ; =>This Inner Loop Header: Depth=1
	s_sleep 1
	global_store_dwordx2 v[8:9], v[14:15], off
	v_mov_b32_e32 v12, s6
	v_mov_b32_e32 v13, s7
	buffer_wbl2
	s_waitcnt vmcnt(0)
	global_atomic_cmpswap_x2 v[12:13], v11, v[12:15], s[10:11] offset:32 glc
	s_waitcnt vmcnt(0)
	v_cmp_eq_u64_e32 vcc, v[12:13], v[14:15]
	s_or_b64 s[16:17], vcc, s[16:17]
	v_pk_mov_b32 v[14:15], v[12:13], v[12:13] op_sel:[0,1]
	s_andn2_b64 exec, exec, s[16:17]
	s_cbranch_execnz .LBB1_11
.LBB1_12:
	s_or_b64 exec, exec, s[14:15]
	v_mov_b32_e32 v11, 0
	global_load_dwordx2 v[8:9], v11, s[10:11] offset:16
	s_mov_b64 s[14:15], exec
	v_mbcnt_lo_u32_b32 v3, s14, 0
	v_mbcnt_hi_u32_b32 v3, s15, v3
	v_cmp_eq_u32_e32 vcc, 0, v3
	s_and_saveexec_b64 s[16:17], vcc
	s_cbranch_execz .LBB1_14
; %bb.13:
	s_bcnt1_i32_b64 s14, s[14:15]
	v_mov_b32_e32 v10, s14
	buffer_wbl2
	s_waitcnt vmcnt(0)
	global_atomic_add_x2 v[8:9], v[10:11], off offset:8
.LBB1_14:
	s_or_b64 exec, exec, s[16:17]
	s_waitcnt vmcnt(0)
	global_load_dwordx2 v[10:11], v[8:9], off offset:16
	s_waitcnt vmcnt(0)
	v_cmp_eq_u64_e32 vcc, 0, v[10:11]
	s_cbranch_vccnz .LBB1_16
; %bb.15:
	global_load_dword v8, v[8:9], off offset:24
	v_mov_b32_e32 v9, 0
	s_waitcnt vmcnt(0)
	v_and_b32_e32 v3, 0xffffff, v8
	v_readfirstlane_b32 m0, v3
	buffer_wbl2
	global_store_dwordx2 v[10:11], v[8:9], off
	s_sendmsg sendmsg(MSG_INTERRUPT)
.LBB1_16:
	s_or_b64 exec, exec, s[12:13]
	s_branch .LBB1_20
.LBB1_17:                               ;   in Loop: Header=BB1_20 Depth=1
	s_or_b64 exec, exec, s[12:13]
	v_readfirstlane_b32 s12, v3
	s_cmp_eq_u32 s12, 0
	s_cbranch_scc1 .LBB1_19
; %bb.18:                               ;   in Loop: Header=BB1_20 Depth=1
	s_sleep 1
	s_cbranch_execnz .LBB1_20
	s_branch .LBB1_22
.LBB1_19:
	s_branch .LBB1_22
.LBB1_20:                               ; =>This Inner Loop Header: Depth=1
	v_mov_b32_e32 v3, 1
	s_and_saveexec_b64 s[12:13], s[4:5]
	s_cbranch_execz .LBB1_17
; %bb.21:                               ;   in Loop: Header=BB1_20 Depth=1
	global_load_dword v3, v[0:1], off offset:20 glc
	s_waitcnt vmcnt(0)
	buffer_invl2
	buffer_wbinvl1_vol
	v_and_b32_e32 v3, 1, v3
	s_branch .LBB1_17
.LBB1_22:
	global_load_dwordx2 v[12:13], v[4:5], off
	s_and_saveexec_b64 s[12:13], s[4:5]
	s_cbranch_execz .LBB1_25
; %bb.23:
	v_mov_b32_e32 v3, 0
	global_load_dwordx2 v[0:1], v3, s[10:11] offset:40
	global_load_dwordx2 v[4:5], v3, s[10:11] offset:24 glc
	global_load_dwordx2 v[14:15], v3, s[10:11]
	v_mov_b32_e32 v9, s7
	s_mov_b64 s[4:5], 0
	s_waitcnt vmcnt(2)
	v_add_co_u32_e32 v11, vcc, 1, v0
	v_addc_co_u32_e32 v16, vcc, 0, v1, vcc
	v_add_co_u32_e32 v8, vcc, s6, v11
	v_addc_co_u32_e32 v9, vcc, v16, v9, vcc
	v_cmp_eq_u64_e32 vcc, 0, v[8:9]
	v_cndmask_b32_e32 v9, v9, v16, vcc
	v_cndmask_b32_e32 v8, v8, v11, vcc
	v_and_b32_e32 v1, v9, v1
	v_and_b32_e32 v0, v8, v0
	v_mul_lo_u32 v1, v1, 24
	v_mul_hi_u32 v11, v0, 24
	v_mul_lo_u32 v0, v0, 24
	v_add_u32_e32 v1, v11, v1
	s_waitcnt vmcnt(0)
	v_add_co_u32_e32 v0, vcc, v14, v0
	v_addc_co_u32_e32 v1, vcc, v15, v1, vcc
	v_mov_b32_e32 v10, v4
	global_store_dwordx2 v[0:1], v[4:5], off
	v_mov_b32_e32 v11, v5
	buffer_wbl2
	s_waitcnt vmcnt(0)
	global_atomic_cmpswap_x2 v[10:11], v3, v[8:11], s[10:11] offset:24 glc
	s_waitcnt vmcnt(0)
	v_cmp_ne_u64_e32 vcc, v[10:11], v[4:5]
	s_and_b64 exec, exec, vcc
	s_cbranch_execz .LBB1_25
.LBB1_24:                               ; =>This Inner Loop Header: Depth=1
	s_sleep 1
	global_store_dwordx2 v[0:1], v[10:11], off
	buffer_wbl2
	s_waitcnt vmcnt(0)
	global_atomic_cmpswap_x2 v[4:5], v3, v[8:11], s[10:11] offset:24 glc
	s_waitcnt vmcnt(0)
	v_cmp_eq_u64_e32 vcc, v[4:5], v[10:11]
	s_or_b64 s[4:5], vcc, s[4:5]
	v_pk_mov_b32 v[10:11], v[4:5], v[4:5] op_sel:[0,1]
	s_andn2_b64 exec, exec, s[4:5]
	s_cbranch_execnz .LBB1_24
.LBB1_25:
	s_or_b64 exec, exec, s[12:13]
	v_lshrrev_b32_e64 v1, 6, s33
	s_mov_b64 s[4:5], 0
.LBB1_26:                               ; =>This Inner Loop Header: Depth=1
	buffer_load_ubyte v3, v1, s[0:3], 0 offen
	v_add_u32_e32 v0, 1, v1
	v_mov_b32_e32 v1, v0
	s_waitcnt vmcnt(0)
	v_cmp_eq_u16_e32 vcc, 0, v3
	s_or_b64 s[4:5], vcc, s[4:5]
	s_andn2_b64 exec, exec, s[4:5]
	s_cbranch_execnz .LBB1_26
; %bb.27:
	s_or_b64 exec, exec, s[4:5]
	v_lshrrev_b32_e64 v5, 6, s33
	v_cmp_ne_u32_e32 vcc, -1, v5
	s_cbranch_vccz .LBB1_112
; %bb.28:
	v_lshrrev_b32_e64 v1, 6, s33
	v_subrev_u32_e32 v0, v1, v0
	v_ashrrev_i32_e32 v1, 31, v0
	v_and_b32_e32 v4, 2, v12
	v_mov_b32_e32 v35, 0
	v_and_b32_e32 v8, -3, v12
	v_mov_b32_e32 v9, v13
	s_mov_b64 s[12:13], 0
	s_mov_b32 s20, 0
	s_movk_i32 s21, 0xff1f
	v_mov_b32_e32 v16, 2
	v_mov_b32_e32 v17, 1
	s_branch .LBB1_30
.LBB1_29:                               ;   in Loop: Header=BB1_30 Depth=1
	s_or_b64 exec, exec, s[6:7]
	v_sub_co_u32_e32 v0, vcc, v0, v50
	v_subb_co_u32_e32 v1, vcc, v1, v15, vcc
	v_cmp_eq_u64_e32 vcc, 0, v[0:1]
	s_or_b64 s[12:13], vcc, s[12:13]
	v_add_u32_e32 v5, v5, v50
	s_andn2_b64 exec, exec, s[12:13]
	s_cbranch_execz .LBB1_113
.LBB1_30:                               ; =>This Loop Header: Depth=1
                                        ;     Child Loop BB1_33 Depth 2
                                        ;     Child Loop BB1_41 Depth 2
	;; [unrolled: 1-line block ×11, first 2 shown]
	v_cmp_gt_u64_e32 vcc, 56, v[0:1]
	v_cndmask_b32_e32 v50, 56, v0, vcc
	v_cmp_gt_u64_e64 s[4:5], 8, v[0:1]
                                        ; implicit-def: $vgpr10_vgpr11
                                        ; implicit-def: $sgpr14
	s_and_saveexec_b64 s[6:7], s[4:5]
	s_xor_b64 s[6:7], exec, s[6:7]
	s_cbranch_execz .LBB1_36
; %bb.31:                               ;   in Loop: Header=BB1_30 Depth=1
	s_mov_b64 s[16:17], 0
	v_cmp_ne_u64_e64 s[4:5], 0, v[0:1]
	s_waitcnt vmcnt(0)
	v_pk_mov_b32 v[10:11], 0, 0
	s_and_saveexec_b64 s[14:15], s[4:5]
	s_cbranch_execz .LBB1_35
; %bb.32:                               ;   in Loop: Header=BB1_30 Depth=1
	s_mov_b32 s22, 0
	v_pk_mov_b32 v[10:11], 0, 0
	s_mov_b64 s[18:19], 0
.LBB1_33:                               ;   Parent Loop BB1_30 Depth=1
                                        ; =>  This Inner Loop Header: Depth=2
	v_add_u32_e32 v3, s22, v5
	buffer_load_ubyte v3, v3, s[0:3], 0 offen
	v_mov_b32_e32 v15, s20
	s_add_i32 s22, s22, 1
	v_cmp_eq_u32_e64 s[4:5], s22, v50
	s_waitcnt vmcnt(0)
	v_and_b32_e32 v14, 0xffff, v3
	v_lshlrev_b64 v[14:15], s18, v[14:15]
	s_add_u32 s18, s18, 8
	s_addc_u32 s19, s19, 0
	v_or_b32_e32 v11, v15, v11
	s_or_b64 s[16:17], s[4:5], s[16:17]
	v_or_b32_e32 v10, v14, v10
	s_andn2_b64 exec, exec, s[16:17]
	s_cbranch_execnz .LBB1_33
; %bb.34:                               ;   in Loop: Header=BB1_30 Depth=1
	s_or_b64 exec, exec, s[16:17]
.LBB1_35:                               ;   in Loop: Header=BB1_30 Depth=1
	s_or_b64 exec, exec, s[14:15]
	s_mov_b32 s14, 0
.LBB1_36:                               ;   in Loop: Header=BB1_30 Depth=1
	s_or_saveexec_b64 s[4:5], s[6:7]
	v_mov_b32_e32 v14, s14
	v_mov_b32_e32 v3, v5
	s_xor_b64 exec, exec, s[4:5]
	s_cbranch_execz .LBB1_38
; %bb.37:                               ;   in Loop: Header=BB1_30 Depth=1
	buffer_load_dword v3, v5, s[0:3], 0 offen offset:4
	buffer_load_dword v10, v5, s[0:3], 0 offen
	v_add_u32_e32 v14, -8, v50
	s_waitcnt vmcnt(1)
	v_and_b32_e32 v11, 0xff, v3
	v_and_b32_e32 v15, 0xff00, v3
	s_waitcnt vmcnt(0)
	v_or3_b32 v10, v10, 0, 0
	v_and_b32_e32 v18, 0xff0000, v3
	v_and_b32_e32 v3, 0xff000000, v3
	v_or3_b32 v11, 0, v11, v15
	v_or3_b32 v10, v10, 0, 0
	;; [unrolled: 1-line block ×3, first 2 shown]
	v_add_u32_e32 v3, 8, v5
.LBB1_38:                               ;   in Loop: Header=BB1_30 Depth=1
	s_or_b64 exec, exec, s[4:5]
	v_cmp_gt_u32_e64 s[4:5], 8, v14
                                        ; implicit-def: $vgpr18_vgpr19
                                        ; implicit-def: $sgpr14
	s_and_saveexec_b64 s[6:7], s[4:5]
	s_xor_b64 s[6:7], exec, s[6:7]
	s_cbranch_execz .LBB1_44
; %bb.39:                               ;   in Loop: Header=BB1_30 Depth=1
	v_cmp_ne_u32_e64 s[4:5], 0, v14
	v_pk_mov_b32 v[18:19], 0, 0
	s_and_saveexec_b64 s[14:15], s[4:5]
	s_cbranch_execz .LBB1_43
; %bb.40:                               ;   in Loop: Header=BB1_30 Depth=1
	s_mov_b32 s22, 0
	s_mov_b64 s[16:17], 0
	v_pk_mov_b32 v[18:19], 0, 0
	s_mov_b64 s[18:19], 0
.LBB1_41:                               ;   Parent Loop BB1_30 Depth=1
                                        ; =>  This Inner Loop Header: Depth=2
	v_add_u32_e32 v15, s22, v3
	buffer_load_ubyte v15, v15, s[0:3], 0 offen
	v_mov_b32_e32 v21, s20
	s_add_i32 s22, s22, 1
	v_cmp_eq_u32_e64 s[4:5], s22, v14
	s_waitcnt vmcnt(0)
	v_and_b32_e32 v20, 0xffff, v15
	v_lshlrev_b64 v[20:21], s18, v[20:21]
	s_add_u32 s18, s18, 8
	s_addc_u32 s19, s19, 0
	v_or_b32_e32 v19, v21, v19
	s_or_b64 s[16:17], s[4:5], s[16:17]
	v_or_b32_e32 v18, v20, v18
	s_andn2_b64 exec, exec, s[16:17]
	s_cbranch_execnz .LBB1_41
; %bb.42:                               ;   in Loop: Header=BB1_30 Depth=1
	s_or_b64 exec, exec, s[16:17]
.LBB1_43:                               ;   in Loop: Header=BB1_30 Depth=1
	s_or_b64 exec, exec, s[14:15]
	s_mov_b32 s14, 0
                                        ; implicit-def: $vgpr14
.LBB1_44:                               ;   in Loop: Header=BB1_30 Depth=1
	s_or_saveexec_b64 s[4:5], s[6:7]
	v_mov_b32_e32 v15, s14
	s_xor_b64 exec, exec, s[4:5]
	s_cbranch_execz .LBB1_46
; %bb.45:                               ;   in Loop: Header=BB1_30 Depth=1
	buffer_load_dword v18, v3, s[0:3], 0 offen offset:4
	buffer_load_dword v19, v3, s[0:3], 0 offen
	v_add_u32_e32 v15, -8, v14
	v_add_u32_e32 v3, 8, v3
	s_waitcnt vmcnt(1)
	v_and_b32_e32 v14, 0xff, v18
	v_and_b32_e32 v20, 0xff00, v18
	s_waitcnt vmcnt(0)
	v_or3_b32 v19, v19, 0, 0
	v_and_b32_e32 v21, 0xff0000, v18
	v_and_b32_e32 v22, 0xff000000, v18
	v_or3_b32 v14, 0, v14, v20
	v_or3_b32 v18, v19, 0, 0
	;; [unrolled: 1-line block ×3, first 2 shown]
.LBB1_46:                               ;   in Loop: Header=BB1_30 Depth=1
	s_or_b64 exec, exec, s[4:5]
	v_cmp_gt_u32_e64 s[4:5], 8, v15
                                        ; implicit-def: $sgpr14
	s_and_saveexec_b64 s[6:7], s[4:5]
	s_xor_b64 s[6:7], exec, s[6:7]
	s_cbranch_execz .LBB1_52
; %bb.47:                               ;   in Loop: Header=BB1_30 Depth=1
	v_cmp_ne_u32_e64 s[4:5], 0, v15
	v_pk_mov_b32 v[20:21], 0, 0
	s_and_saveexec_b64 s[14:15], s[4:5]
	s_cbranch_execz .LBB1_51
; %bb.48:                               ;   in Loop: Header=BB1_30 Depth=1
	s_mov_b32 s22, 0
	s_mov_b64 s[16:17], 0
	v_pk_mov_b32 v[20:21], 0, 0
	s_mov_b64 s[18:19], 0
.LBB1_49:                               ;   Parent Loop BB1_30 Depth=1
                                        ; =>  This Inner Loop Header: Depth=2
	v_add_u32_e32 v14, s22, v3
	buffer_load_ubyte v14, v14, s[0:3], 0 offen
	v_mov_b32_e32 v23, s20
	s_add_i32 s22, s22, 1
	v_cmp_eq_u32_e64 s[4:5], s22, v15
	s_waitcnt vmcnt(0)
	v_and_b32_e32 v22, 0xffff, v14
	v_lshlrev_b64 v[22:23], s18, v[22:23]
	s_add_u32 s18, s18, 8
	s_addc_u32 s19, s19, 0
	v_or_b32_e32 v21, v23, v21
	s_or_b64 s[16:17], s[4:5], s[16:17]
	v_or_b32_e32 v20, v22, v20
	s_andn2_b64 exec, exec, s[16:17]
	s_cbranch_execnz .LBB1_49
; %bb.50:                               ;   in Loop: Header=BB1_30 Depth=1
	s_or_b64 exec, exec, s[16:17]
.LBB1_51:                               ;   in Loop: Header=BB1_30 Depth=1
	s_or_b64 exec, exec, s[14:15]
	s_mov_b32 s14, 0
                                        ; implicit-def: $vgpr15
.LBB1_52:                               ;   in Loop: Header=BB1_30 Depth=1
	s_or_saveexec_b64 s[4:5], s[6:7]
	v_mov_b32_e32 v14, s14
	s_xor_b64 exec, exec, s[4:5]
	s_cbranch_execz .LBB1_54
; %bb.53:                               ;   in Loop: Header=BB1_30 Depth=1
	buffer_load_dword v20, v3, s[0:3], 0 offen offset:4
	buffer_load_dword v21, v3, s[0:3], 0 offen
	v_add_u32_e32 v14, -8, v15
	v_add_u32_e32 v3, 8, v3
	s_waitcnt vmcnt(1)
	v_and_b32_e32 v15, 0xff, v20
	v_and_b32_e32 v22, 0xff00, v20
	s_waitcnt vmcnt(0)
	v_or3_b32 v21, v21, 0, 0
	v_and_b32_e32 v23, 0xff0000, v20
	v_and_b32_e32 v24, 0xff000000, v20
	v_or3_b32 v15, 0, v15, v22
	v_or3_b32 v20, v21, 0, 0
	;; [unrolled: 1-line block ×3, first 2 shown]
.LBB1_54:                               ;   in Loop: Header=BB1_30 Depth=1
	s_or_b64 exec, exec, s[4:5]
	v_cmp_gt_u32_e64 s[4:5], 8, v14
                                        ; implicit-def: $vgpr22_vgpr23
                                        ; implicit-def: $sgpr14
	s_and_saveexec_b64 s[6:7], s[4:5]
	s_xor_b64 s[6:7], exec, s[6:7]
	s_cbranch_execz .LBB1_60
; %bb.55:                               ;   in Loop: Header=BB1_30 Depth=1
	v_cmp_ne_u32_e64 s[4:5], 0, v14
	v_pk_mov_b32 v[22:23], 0, 0
	s_and_saveexec_b64 s[14:15], s[4:5]
	s_cbranch_execz .LBB1_59
; %bb.56:                               ;   in Loop: Header=BB1_30 Depth=1
	s_mov_b32 s22, 0
	s_mov_b64 s[16:17], 0
	v_pk_mov_b32 v[22:23], 0, 0
	s_mov_b64 s[18:19], 0
.LBB1_57:                               ;   Parent Loop BB1_30 Depth=1
                                        ; =>  This Inner Loop Header: Depth=2
	v_add_u32_e32 v15, s22, v3
	buffer_load_ubyte v15, v15, s[0:3], 0 offen
	v_mov_b32_e32 v25, s20
	s_add_i32 s22, s22, 1
	v_cmp_eq_u32_e64 s[4:5], s22, v14
	s_waitcnt vmcnt(0)
	v_and_b32_e32 v24, 0xffff, v15
	v_lshlrev_b64 v[24:25], s18, v[24:25]
	s_add_u32 s18, s18, 8
	s_addc_u32 s19, s19, 0
	v_or_b32_e32 v23, v25, v23
	s_or_b64 s[16:17], s[4:5], s[16:17]
	v_or_b32_e32 v22, v24, v22
	s_andn2_b64 exec, exec, s[16:17]
	s_cbranch_execnz .LBB1_57
; %bb.58:                               ;   in Loop: Header=BB1_30 Depth=1
	s_or_b64 exec, exec, s[16:17]
.LBB1_59:                               ;   in Loop: Header=BB1_30 Depth=1
	s_or_b64 exec, exec, s[14:15]
	s_mov_b32 s14, 0
                                        ; implicit-def: $vgpr14
.LBB1_60:                               ;   in Loop: Header=BB1_30 Depth=1
	s_or_saveexec_b64 s[4:5], s[6:7]
	v_mov_b32_e32 v15, s14
	s_xor_b64 exec, exec, s[4:5]
	s_cbranch_execz .LBB1_62
; %bb.61:                               ;   in Loop: Header=BB1_30 Depth=1
	buffer_load_dword v22, v3, s[0:3], 0 offen offset:4
	buffer_load_dword v23, v3, s[0:3], 0 offen
	v_add_u32_e32 v15, -8, v14
	v_add_u32_e32 v3, 8, v3
	s_waitcnt vmcnt(1)
	v_and_b32_e32 v14, 0xff, v22
	v_and_b32_e32 v24, 0xff00, v22
	s_waitcnt vmcnt(0)
	v_or3_b32 v23, v23, 0, 0
	v_and_b32_e32 v25, 0xff0000, v22
	v_and_b32_e32 v26, 0xff000000, v22
	v_or3_b32 v14, 0, v14, v24
	v_or3_b32 v22, v23, 0, 0
	;; [unrolled: 1-line block ×3, first 2 shown]
.LBB1_62:                               ;   in Loop: Header=BB1_30 Depth=1
	s_or_b64 exec, exec, s[4:5]
	v_cmp_gt_u32_e64 s[4:5], 8, v15
                                        ; implicit-def: $sgpr14
	s_and_saveexec_b64 s[6:7], s[4:5]
	s_xor_b64 s[6:7], exec, s[6:7]
	s_cbranch_execz .LBB1_68
; %bb.63:                               ;   in Loop: Header=BB1_30 Depth=1
	v_cmp_ne_u32_e64 s[4:5], 0, v15
	v_pk_mov_b32 v[24:25], 0, 0
	s_and_saveexec_b64 s[14:15], s[4:5]
	s_cbranch_execz .LBB1_67
; %bb.64:                               ;   in Loop: Header=BB1_30 Depth=1
	s_mov_b32 s22, 0
	s_mov_b64 s[16:17], 0
	v_pk_mov_b32 v[24:25], 0, 0
	s_mov_b64 s[18:19], 0
.LBB1_65:                               ;   Parent Loop BB1_30 Depth=1
                                        ; =>  This Inner Loop Header: Depth=2
	v_add_u32_e32 v14, s22, v3
	buffer_load_ubyte v14, v14, s[0:3], 0 offen
	v_mov_b32_e32 v27, s20
	s_add_i32 s22, s22, 1
	v_cmp_eq_u32_e64 s[4:5], s22, v15
	s_waitcnt vmcnt(0)
	v_and_b32_e32 v26, 0xffff, v14
	v_lshlrev_b64 v[26:27], s18, v[26:27]
	s_add_u32 s18, s18, 8
	s_addc_u32 s19, s19, 0
	v_or_b32_e32 v25, v27, v25
	s_or_b64 s[16:17], s[4:5], s[16:17]
	v_or_b32_e32 v24, v26, v24
	s_andn2_b64 exec, exec, s[16:17]
	s_cbranch_execnz .LBB1_65
; %bb.66:                               ;   in Loop: Header=BB1_30 Depth=1
	s_or_b64 exec, exec, s[16:17]
.LBB1_67:                               ;   in Loop: Header=BB1_30 Depth=1
	s_or_b64 exec, exec, s[14:15]
	s_mov_b32 s14, 0
                                        ; implicit-def: $vgpr15
.LBB1_68:                               ;   in Loop: Header=BB1_30 Depth=1
	s_or_saveexec_b64 s[4:5], s[6:7]
	v_mov_b32_e32 v14, s14
	s_xor_b64 exec, exec, s[4:5]
	s_cbranch_execz .LBB1_70
; %bb.69:                               ;   in Loop: Header=BB1_30 Depth=1
	buffer_load_dword v24, v3, s[0:3], 0 offen offset:4
	buffer_load_dword v25, v3, s[0:3], 0 offen
	v_add_u32_e32 v14, -8, v15
	v_add_u32_e32 v3, 8, v3
	s_waitcnt vmcnt(1)
	v_and_b32_e32 v15, 0xff, v24
	v_and_b32_e32 v26, 0xff00, v24
	s_waitcnt vmcnt(0)
	v_or3_b32 v25, v25, 0, 0
	v_and_b32_e32 v27, 0xff0000, v24
	v_and_b32_e32 v28, 0xff000000, v24
	v_or3_b32 v15, 0, v15, v26
	v_or3_b32 v24, v25, 0, 0
	;; [unrolled: 1-line block ×3, first 2 shown]
.LBB1_70:                               ;   in Loop: Header=BB1_30 Depth=1
	s_or_b64 exec, exec, s[4:5]
	v_cmp_gt_u32_e64 s[4:5], 8, v14
                                        ; implicit-def: $vgpr26_vgpr27
                                        ; implicit-def: $sgpr14
	s_and_saveexec_b64 s[6:7], s[4:5]
	s_xor_b64 s[6:7], exec, s[6:7]
	s_cbranch_execz .LBB1_76
; %bb.71:                               ;   in Loop: Header=BB1_30 Depth=1
	v_cmp_ne_u32_e64 s[4:5], 0, v14
	v_pk_mov_b32 v[26:27], 0, 0
	s_and_saveexec_b64 s[14:15], s[4:5]
	s_cbranch_execz .LBB1_75
; %bb.72:                               ;   in Loop: Header=BB1_30 Depth=1
	s_mov_b32 s22, 0
	s_mov_b64 s[16:17], 0
	v_pk_mov_b32 v[26:27], 0, 0
	s_mov_b64 s[18:19], 0
.LBB1_73:                               ;   Parent Loop BB1_30 Depth=1
                                        ; =>  This Inner Loop Header: Depth=2
	v_add_u32_e32 v15, s22, v3
	buffer_load_ubyte v15, v15, s[0:3], 0 offen
	v_mov_b32_e32 v29, s20
	s_add_i32 s22, s22, 1
	v_cmp_eq_u32_e64 s[4:5], s22, v14
	s_waitcnt vmcnt(0)
	v_and_b32_e32 v28, 0xffff, v15
	v_lshlrev_b64 v[28:29], s18, v[28:29]
	s_add_u32 s18, s18, 8
	s_addc_u32 s19, s19, 0
	v_or_b32_e32 v27, v29, v27
	s_or_b64 s[16:17], s[4:5], s[16:17]
	v_or_b32_e32 v26, v28, v26
	s_andn2_b64 exec, exec, s[16:17]
	s_cbranch_execnz .LBB1_73
; %bb.74:                               ;   in Loop: Header=BB1_30 Depth=1
	s_or_b64 exec, exec, s[16:17]
.LBB1_75:                               ;   in Loop: Header=BB1_30 Depth=1
	s_or_b64 exec, exec, s[14:15]
	s_mov_b32 s14, 0
                                        ; implicit-def: $vgpr14
.LBB1_76:                               ;   in Loop: Header=BB1_30 Depth=1
	s_or_saveexec_b64 s[4:5], s[6:7]
	v_mov_b32_e32 v15, s14
	s_xor_b64 exec, exec, s[4:5]
	s_cbranch_execz .LBB1_78
; %bb.77:                               ;   in Loop: Header=BB1_30 Depth=1
	buffer_load_dword v26, v3, s[0:3], 0 offen offset:4
	buffer_load_dword v27, v3, s[0:3], 0 offen
	v_add_u32_e32 v15, -8, v14
	v_add_u32_e32 v3, 8, v3
	s_waitcnt vmcnt(1)
	v_and_b32_e32 v14, 0xff, v26
	v_and_b32_e32 v28, 0xff00, v26
	s_waitcnt vmcnt(0)
	v_or3_b32 v27, v27, 0, 0
	v_and_b32_e32 v29, 0xff0000, v26
	v_and_b32_e32 v30, 0xff000000, v26
	v_or3_b32 v14, 0, v14, v28
	v_or3_b32 v26, v27, 0, 0
	;; [unrolled: 1-line block ×3, first 2 shown]
.LBB1_78:                               ;   in Loop: Header=BB1_30 Depth=1
	s_or_b64 exec, exec, s[4:5]
	v_cmp_gt_u32_e64 s[4:5], 8, v15
	s_and_saveexec_b64 s[6:7], s[4:5]
	s_xor_b64 s[6:7], exec, s[6:7]
	s_cbranch_execz .LBB1_84
; %bb.79:                               ;   in Loop: Header=BB1_30 Depth=1
	v_cmp_ne_u32_e64 s[4:5], 0, v15
	v_pk_mov_b32 v[28:29], 0, 0
	s_and_saveexec_b64 s[14:15], s[4:5]
	s_cbranch_execz .LBB1_83
; %bb.80:                               ;   in Loop: Header=BB1_30 Depth=1
	s_mov_b64 s[16:17], 0
	v_pk_mov_b32 v[28:29], 0, 0
	s_mov_b64 s[18:19], 0
.LBB1_81:                               ;   Parent Loop BB1_30 Depth=1
                                        ; =>  This Inner Loop Header: Depth=2
	buffer_load_ubyte v14, v3, s[0:3], 0 offen
	v_mov_b32_e32 v31, s20
	v_add_u32_e32 v15, -1, v15
	v_cmp_eq_u32_e64 s[4:5], 0, v15
	v_add_u32_e32 v3, 1, v3
	s_waitcnt vmcnt(0)
	v_and_b32_e32 v30, 0xffff, v14
	v_lshlrev_b64 v[30:31], s18, v[30:31]
	s_add_u32 s18, s18, 8
	s_addc_u32 s19, s19, 0
	v_or_b32_e32 v29, v31, v29
	s_or_b64 s[16:17], s[4:5], s[16:17]
	v_or_b32_e32 v28, v30, v28
	s_andn2_b64 exec, exec, s[16:17]
	s_cbranch_execnz .LBB1_81
; %bb.82:                               ;   in Loop: Header=BB1_30 Depth=1
	s_or_b64 exec, exec, s[16:17]
.LBB1_83:                               ;   in Loop: Header=BB1_30 Depth=1
	s_or_b64 exec, exec, s[14:15]
                                        ; implicit-def: $vgpr3
.LBB1_84:                               ;   in Loop: Header=BB1_30 Depth=1
	s_andn2_saveexec_b64 s[4:5], s[6:7]
	s_cbranch_execz .LBB1_86
; %bb.85:                               ;   in Loop: Header=BB1_30 Depth=1
	buffer_load_dword v14, v3, s[0:3], 0 offen offset:4
	s_nop 0
	buffer_load_dword v3, v3, s[0:3], 0 offen
	s_waitcnt vmcnt(1)
	v_and_b32_e32 v15, 0xff, v14
	v_and_b32_e32 v28, 0xff00, v14
	s_waitcnt vmcnt(0)
	v_or3_b32 v3, v3, 0, 0
	v_and_b32_e32 v29, 0xff0000, v14
	v_and_b32_e32 v14, 0xff000000, v14
	v_or3_b32 v15, 0, v15, v28
	v_or3_b32 v29, v15, v29, v14
	;; [unrolled: 1-line block ×3, first 2 shown]
.LBB1_86:                               ;   in Loop: Header=BB1_30 Depth=1
	s_or_b64 exec, exec, s[4:5]
	v_readfirstlane_b32 s4, v49
	v_cmp_eq_u32_e64 s[4:5], s4, v49
	v_pk_mov_b32 v[14:15], 0, 0
	s_and_saveexec_b64 s[14:15], s[4:5]
	s_cbranch_execz .LBB1_92
; %bb.87:                               ;   in Loop: Header=BB1_30 Depth=1
	global_load_dwordx2 v[32:33], v35, s[10:11] offset:24 glc
	s_waitcnt vmcnt(0)
	buffer_invl2
	buffer_wbinvl1_vol
	global_load_dwordx2 v[14:15], v35, s[10:11] offset:40
	global_load_dwordx2 v[30:31], v35, s[10:11]
	s_waitcnt vmcnt(1)
	v_and_b32_e32 v3, v14, v32
	v_and_b32_e32 v14, v15, v33
	v_mul_lo_u32 v14, v14, 24
	v_mul_hi_u32 v15, v3, 24
	v_mul_lo_u32 v3, v3, 24
	v_add_u32_e32 v15, v15, v14
	s_waitcnt vmcnt(0)
	v_add_co_u32_e64 v14, s[6:7], v30, v3
	v_addc_co_u32_e64 v15, s[6:7], v31, v15, s[6:7]
	global_load_dwordx2 v[30:31], v[14:15], off glc
	s_waitcnt vmcnt(0)
	global_atomic_cmpswap_x2 v[14:15], v35, v[30:33], s[10:11] offset:24 glc
	s_waitcnt vmcnt(0)
	buffer_invl2
	buffer_wbinvl1_vol
	v_cmp_ne_u64_e64 s[6:7], v[14:15], v[32:33]
	s_and_saveexec_b64 s[16:17], s[6:7]
	s_cbranch_execz .LBB1_91
; %bb.88:                               ;   in Loop: Header=BB1_30 Depth=1
	s_mov_b64 s[18:19], 0
.LBB1_89:                               ;   Parent Loop BB1_30 Depth=1
                                        ; =>  This Inner Loop Header: Depth=2
	s_sleep 1
	global_load_dwordx2 v[30:31], v35, s[10:11] offset:40
	global_load_dwordx2 v[38:39], v35, s[10:11]
	v_pk_mov_b32 v[32:33], v[14:15], v[14:15] op_sel:[0,1]
	s_waitcnt vmcnt(1)
	v_and_b32_e32 v14, v30, v32
	s_waitcnt vmcnt(0)
	v_mad_u64_u32 v[14:15], s[6:7], v14, 24, v[38:39]
	v_and_b32_e32 v3, v31, v33
	v_mov_b32_e32 v30, v15
	v_mad_u64_u32 v[30:31], s[6:7], v3, 24, v[30:31]
	v_mov_b32_e32 v15, v30
	global_load_dwordx2 v[30:31], v[14:15], off glc
	s_waitcnt vmcnt(0)
	global_atomic_cmpswap_x2 v[14:15], v35, v[30:33], s[10:11] offset:24 glc
	s_waitcnt vmcnt(0)
	buffer_invl2
	buffer_wbinvl1_vol
	v_cmp_eq_u64_e64 s[6:7], v[14:15], v[32:33]
	s_or_b64 s[18:19], s[6:7], s[18:19]
	s_andn2_b64 exec, exec, s[18:19]
	s_cbranch_execnz .LBB1_89
; %bb.90:                               ;   in Loop: Header=BB1_30 Depth=1
	s_or_b64 exec, exec, s[18:19]
.LBB1_91:                               ;   in Loop: Header=BB1_30 Depth=1
	s_or_b64 exec, exec, s[16:17]
.LBB1_92:                               ;   in Loop: Header=BB1_30 Depth=1
	s_or_b64 exec, exec, s[14:15]
	global_load_dwordx2 v[38:39], v35, s[10:11] offset:40
	global_load_dwordx4 v[30:33], v35, s[10:11]
	v_readfirstlane_b32 s14, v14
	v_readfirstlane_b32 s15, v15
	s_mov_b64 s[16:17], exec
	s_waitcnt vmcnt(1)
	v_readfirstlane_b32 s6, v38
	v_readfirstlane_b32 s7, v39
	s_and_b64 s[18:19], s[14:15], s[6:7]
	s_mul_i32 s6, s19, 24
	s_mul_hi_u32 s7, s18, 24
	s_mul_i32 s22, s18, 24
	s_add_i32 s6, s7, s6
	v_mov_b32_e32 v3, s6
	s_waitcnt vmcnt(0)
	v_add_co_u32_e64 v38, s[6:7], s22, v30
	v_addc_co_u32_e64 v39, s[6:7], v31, v3, s[6:7]
	s_and_saveexec_b64 s[6:7], s[4:5]
	s_cbranch_execz .LBB1_94
; %bb.93:                               ;   in Loop: Header=BB1_30 Depth=1
	v_pk_mov_b32 v[14:15], s[16:17], s[16:17] op_sel:[0,1]
	global_store_dwordx4 v[38:39], v[14:17], off offset:8
.LBB1_94:                               ;   in Loop: Header=BB1_30 Depth=1
	s_or_b64 exec, exec, s[6:7]
	s_lshl_b64 s[6:7], s[18:19], 12
	v_cndmask_b32_e32 v15, 0, v1, vcc
	v_mov_b32_e32 v3, s7
	v_add_co_u32_e32 v14, vcc, s6, v32
	v_addc_co_u32_e32 v3, vcc, v33, v3, vcc
	v_or_b32_e32 v32, 0, v9
	v_cmp_lt_u64_e32 vcc, 56, v[0:1]
	v_or_b32_e32 v33, v8, v4
	v_cndmask_b32_e32 v9, v32, v9, vcc
	v_lshl_add_u32 v32, v50, 2, 28
	v_cndmask_b32_e32 v8, v33, v8, vcc
	v_and_b32_e32 v32, 0x1e0, v32
	v_and_or_b32 v8, v8, s21, v32
	v_readfirstlane_b32 s6, v14
	v_readfirstlane_b32 s7, v3
	s_nop 4
	global_store_dwordx4 v48, v[8:11], s[6:7]
	global_store_dwordx4 v48, v[18:21], s[6:7] offset:16
	global_store_dwordx4 v48, v[22:25], s[6:7] offset:32
	;; [unrolled: 1-line block ×3, first 2 shown]
	s_and_saveexec_b64 s[6:7], s[4:5]
	s_cbranch_execz .LBB1_102
; %bb.95:                               ;   in Loop: Header=BB1_30 Depth=1
	global_load_dwordx2 v[22:23], v35, s[10:11] offset:32 glc
	global_load_dwordx2 v[8:9], v35, s[10:11] offset:40
	v_mov_b32_e32 v20, s14
	v_mov_b32_e32 v21, s15
	s_waitcnt vmcnt(0)
	v_readfirstlane_b32 s16, v8
	v_readfirstlane_b32 s17, v9
	s_and_b64 s[16:17], s[16:17], s[14:15]
	s_mul_i32 s17, s17, 24
	s_mul_hi_u32 s18, s16, 24
	s_mul_i32 s16, s16, 24
	s_add_i32 s17, s18, s17
	v_mov_b32_e32 v8, s17
	v_add_co_u32_e32 v18, vcc, s16, v30
	v_addc_co_u32_e32 v19, vcc, v31, v8, vcc
	global_store_dwordx2 v[18:19], v[22:23], off
	buffer_wbl2
	s_waitcnt vmcnt(0)
	global_atomic_cmpswap_x2 v[10:11], v35, v[20:23], s[10:11] offset:32 glc
	s_waitcnt vmcnt(0)
	v_cmp_ne_u64_e32 vcc, v[10:11], v[22:23]
	s_and_saveexec_b64 s[16:17], vcc
	s_cbranch_execz .LBB1_98
; %bb.96:                               ;   in Loop: Header=BB1_30 Depth=1
	s_mov_b64 s[18:19], 0
.LBB1_97:                               ;   Parent Loop BB1_30 Depth=1
                                        ; =>  This Inner Loop Header: Depth=2
	s_sleep 1
	global_store_dwordx2 v[18:19], v[10:11], off
	v_mov_b32_e32 v8, s14
	v_mov_b32_e32 v9, s15
	buffer_wbl2
	s_waitcnt vmcnt(0)
	global_atomic_cmpswap_x2 v[8:9], v35, v[8:11], s[10:11] offset:32 glc
	s_waitcnt vmcnt(0)
	v_cmp_eq_u64_e32 vcc, v[8:9], v[10:11]
	s_or_b64 s[18:19], vcc, s[18:19]
	v_pk_mov_b32 v[10:11], v[8:9], v[8:9] op_sel:[0,1]
	s_andn2_b64 exec, exec, s[18:19]
	s_cbranch_execnz .LBB1_97
.LBB1_98:                               ;   in Loop: Header=BB1_30 Depth=1
	s_or_b64 exec, exec, s[16:17]
	global_load_dwordx2 v[8:9], v35, s[10:11] offset:16
	s_mov_b64 s[18:19], exec
	v_mbcnt_lo_u32_b32 v10, s18, 0
	v_mbcnt_hi_u32_b32 v10, s19, v10
	v_cmp_eq_u32_e32 vcc, 0, v10
	s_and_saveexec_b64 s[16:17], vcc
	s_cbranch_execz .LBB1_100
; %bb.99:                               ;   in Loop: Header=BB1_30 Depth=1
	s_bcnt1_i32_b64 s18, s[18:19]
	v_mov_b32_e32 v34, s18
	buffer_wbl2
	s_waitcnt vmcnt(0)
	global_atomic_add_x2 v[8:9], v[34:35], off offset:8
.LBB1_100:                              ;   in Loop: Header=BB1_30 Depth=1
	s_or_b64 exec, exec, s[16:17]
	s_waitcnt vmcnt(0)
	global_load_dwordx2 v[10:11], v[8:9], off offset:16
	s_waitcnt vmcnt(0)
	v_cmp_eq_u64_e32 vcc, 0, v[10:11]
	s_cbranch_vccnz .LBB1_102
; %bb.101:                              ;   in Loop: Header=BB1_30 Depth=1
	global_load_dword v34, v[8:9], off offset:24
	s_waitcnt vmcnt(0)
	v_and_b32_e32 v8, 0xffffff, v34
	v_readfirstlane_b32 m0, v8
	buffer_wbl2
	global_store_dwordx2 v[10:11], v[34:35], off
	s_sendmsg sendmsg(MSG_INTERRUPT)
.LBB1_102:                              ;   in Loop: Header=BB1_30 Depth=1
	s_or_b64 exec, exec, s[6:7]
	v_add_co_u32_e32 v8, vcc, v14, v48
	v_addc_co_u32_e32 v9, vcc, 0, v3, vcc
	s_branch .LBB1_106
.LBB1_103:                              ;   in Loop: Header=BB1_106 Depth=2
	s_or_b64 exec, exec, s[6:7]
	v_readfirstlane_b32 s6, v3
	s_cmp_eq_u32 s6, 0
	s_cbranch_scc1 .LBB1_105
; %bb.104:                              ;   in Loop: Header=BB1_106 Depth=2
	s_sleep 1
	s_cbranch_execnz .LBB1_106
	s_branch .LBB1_108
.LBB1_105:                              ;   in Loop: Header=BB1_30 Depth=1
	s_branch .LBB1_108
.LBB1_106:                              ;   Parent Loop BB1_30 Depth=1
                                        ; =>  This Inner Loop Header: Depth=2
	v_mov_b32_e32 v3, 1
	s_and_saveexec_b64 s[6:7], s[4:5]
	s_cbranch_execz .LBB1_103
; %bb.107:                              ;   in Loop: Header=BB1_106 Depth=2
	global_load_dword v3, v[38:39], off offset:20 glc
	s_waitcnt vmcnt(0)
	buffer_invl2
	buffer_wbinvl1_vol
	v_and_b32_e32 v3, 1, v3
	s_branch .LBB1_103
.LBB1_108:                              ;   in Loop: Header=BB1_30 Depth=1
	global_load_dwordx4 v[8:11], v[8:9], off
	s_and_saveexec_b64 s[6:7], s[4:5]
	s_cbranch_execz .LBB1_29
; %bb.109:                              ;   in Loop: Header=BB1_30 Depth=1
	global_load_dwordx2 v[10:11], v35, s[10:11] offset:40
	global_load_dwordx2 v[22:23], v35, s[10:11] offset:24 glc
	global_load_dwordx2 v[24:25], v35, s[10:11]
	v_mov_b32_e32 v3, s15
	s_waitcnt vmcnt(2)
	v_add_co_u32_e32 v14, vcc, 1, v10
	v_addc_co_u32_e32 v21, vcc, 0, v11, vcc
	v_add_co_u32_e32 v18, vcc, s14, v14
	v_addc_co_u32_e32 v19, vcc, v21, v3, vcc
	v_cmp_eq_u64_e32 vcc, 0, v[18:19]
	v_cndmask_b32_e32 v19, v19, v21, vcc
	v_cndmask_b32_e32 v18, v18, v14, vcc
	v_and_b32_e32 v3, v19, v11
	v_and_b32_e32 v10, v18, v10
	v_mul_lo_u32 v3, v3, 24
	v_mul_hi_u32 v11, v10, 24
	v_mul_lo_u32 v10, v10, 24
	v_add_u32_e32 v3, v11, v3
	s_waitcnt vmcnt(0)
	v_add_co_u32_e32 v10, vcc, v24, v10
	v_addc_co_u32_e32 v11, vcc, v25, v3, vcc
	v_mov_b32_e32 v20, v22
	global_store_dwordx2 v[10:11], v[22:23], off
	v_mov_b32_e32 v21, v23
	buffer_wbl2
	s_waitcnt vmcnt(0)
	global_atomic_cmpswap_x2 v[20:21], v35, v[18:21], s[10:11] offset:24 glc
	s_waitcnt vmcnt(0)
	v_cmp_ne_u64_e32 vcc, v[20:21], v[22:23]
	s_and_b64 exec, exec, vcc
	s_cbranch_execz .LBB1_29
; %bb.110:                              ;   in Loop: Header=BB1_30 Depth=1
	s_mov_b64 s[4:5], 0
.LBB1_111:                              ;   Parent Loop BB1_30 Depth=1
                                        ; =>  This Inner Loop Header: Depth=2
	s_sleep 1
	global_store_dwordx2 v[10:11], v[20:21], off
	buffer_wbl2
	s_waitcnt vmcnt(0)
	global_atomic_cmpswap_x2 v[22:23], v35, v[18:21], s[10:11] offset:24 glc
	s_waitcnt vmcnt(0)
	v_cmp_eq_u64_e32 vcc, v[22:23], v[20:21]
	s_or_b64 s[4:5], vcc, s[4:5]
	v_pk_mov_b32 v[20:21], v[22:23], v[22:23] op_sel:[0,1]
	s_andn2_b64 exec, exec, s[4:5]
	s_cbranch_execnz .LBB1_111
	s_branch .LBB1_29
.LBB1_112:
                                        ; implicit-def: $vgpr8_vgpr9
	s_cbranch_execnz .LBB1_114
	s_branch .LBB1_140
.LBB1_113:
	s_or_b64 exec, exec, s[12:13]
	s_branch .LBB1_140
.LBB1_114:
	v_readfirstlane_b32 s4, v49
	v_cmp_eq_u32_e64 s[4:5], s4, v49
	v_pk_mov_b32 v[0:1], 0, 0
	s_and_saveexec_b64 s[6:7], s[4:5]
	s_cbranch_execz .LBB1_120
; %bb.115:
	v_mov_b32_e32 v3, 0
	global_load_dwordx2 v[10:11], v3, s[10:11] offset:24 glc
	s_waitcnt vmcnt(0)
	buffer_invl2
	buffer_wbinvl1_vol
	global_load_dwordx2 v[0:1], v3, s[10:11] offset:40
	global_load_dwordx2 v[4:5], v3, s[10:11]
	s_waitcnt vmcnt(1)
	v_and_b32_e32 v0, v0, v10
	v_and_b32_e32 v1, v1, v11
	v_mul_lo_u32 v1, v1, 24
	v_mul_hi_u32 v8, v0, 24
	v_mul_lo_u32 v0, v0, 24
	v_add_u32_e32 v1, v8, v1
	s_waitcnt vmcnt(0)
	v_add_co_u32_e32 v0, vcc, v4, v0
	v_addc_co_u32_e32 v1, vcc, v5, v1, vcc
	global_load_dwordx2 v[8:9], v[0:1], off glc
	s_waitcnt vmcnt(0)
	global_atomic_cmpswap_x2 v[0:1], v3, v[8:11], s[10:11] offset:24 glc
	s_waitcnt vmcnt(0)
	buffer_invl2
	buffer_wbinvl1_vol
	v_cmp_ne_u64_e32 vcc, v[0:1], v[10:11]
	s_and_saveexec_b64 s[12:13], vcc
	s_cbranch_execz .LBB1_119
; %bb.116:
	s_mov_b64 s[14:15], 0
.LBB1_117:                              ; =>This Inner Loop Header: Depth=1
	s_sleep 1
	global_load_dwordx2 v[4:5], v3, s[10:11] offset:40
	global_load_dwordx2 v[8:9], v3, s[10:11]
	v_pk_mov_b32 v[10:11], v[0:1], v[0:1] op_sel:[0,1]
	s_waitcnt vmcnt(1)
	v_and_b32_e32 v0, v4, v10
	s_waitcnt vmcnt(0)
	v_mad_u64_u32 v[0:1], s[16:17], v0, 24, v[8:9]
	v_and_b32_e32 v5, v5, v11
	v_mov_b32_e32 v4, v1
	v_mad_u64_u32 v[4:5], s[16:17], v5, 24, v[4:5]
	v_mov_b32_e32 v1, v4
	global_load_dwordx2 v[8:9], v[0:1], off glc
	s_waitcnt vmcnt(0)
	global_atomic_cmpswap_x2 v[0:1], v3, v[8:11], s[10:11] offset:24 glc
	s_waitcnt vmcnt(0)
	buffer_invl2
	buffer_wbinvl1_vol
	v_cmp_eq_u64_e32 vcc, v[0:1], v[10:11]
	s_or_b64 s[14:15], vcc, s[14:15]
	s_andn2_b64 exec, exec, s[14:15]
	s_cbranch_execnz .LBB1_117
; %bb.118:
	s_or_b64 exec, exec, s[14:15]
.LBB1_119:
	s_or_b64 exec, exec, s[12:13]
.LBB1_120:
	s_or_b64 exec, exec, s[6:7]
	v_mov_b32_e32 v14, 0
	global_load_dwordx2 v[4:5], v14, s[10:11] offset:40
	global_load_dwordx4 v[8:11], v14, s[10:11]
	v_readfirstlane_b32 s6, v0
	v_readfirstlane_b32 s7, v1
	s_mov_b64 s[12:13], exec
	s_waitcnt vmcnt(1)
	v_readfirstlane_b32 s14, v4
	v_readfirstlane_b32 s15, v5
	s_and_b64 s[14:15], s[6:7], s[14:15]
	s_mul_i32 s16, s15, 24
	s_mul_hi_u32 s17, s14, 24
	s_mul_i32 s18, s14, 24
	s_add_i32 s16, s17, s16
	v_mov_b32_e32 v1, s16
	s_waitcnt vmcnt(0)
	v_add_co_u32_e32 v0, vcc, s18, v8
	v_addc_co_u32_e32 v1, vcc, v9, v1, vcc
	s_and_saveexec_b64 s[16:17], s[4:5]
	s_cbranch_execz .LBB1_122
; %bb.121:
	v_pk_mov_b32 v[16:17], s[12:13], s[12:13] op_sel:[0,1]
	v_mov_b32_e32 v18, 2
	v_mov_b32_e32 v19, 1
	global_store_dwordx4 v[0:1], v[16:19], off offset:8
.LBB1_122:
	s_or_b64 exec, exec, s[16:17]
	s_lshl_b64 s[12:13], s[14:15], 12
	v_mov_b32_e32 v3, s13
	v_add_co_u32_e32 v10, vcc, s12, v10
	s_movk_i32 s12, 0xff1f
	v_addc_co_u32_e32 v3, vcc, v11, v3, vcc
	v_and_or_b32 v12, v12, s12, 32
	s_mov_b32 s12, 0
	v_mov_b32_e32 v15, v14
	v_readfirstlane_b32 s16, v10
	v_readfirstlane_b32 s17, v3
	s_mov_b32 s13, s12
	v_add_co_u32_e32 v4, vcc, v10, v48
	s_mov_b32 s14, s12
	s_mov_b32 s15, s12
	s_nop 0
	global_store_dwordx4 v48, v[12:15], s[16:17]
	v_pk_mov_b32 v[10:11], s[12:13], s[12:13] op_sel:[0,1]
	v_addc_co_u32_e32 v5, vcc, 0, v3, vcc
	v_pk_mov_b32 v[12:13], s[14:15], s[14:15] op_sel:[0,1]
	global_store_dwordx4 v48, v[10:13], s[16:17] offset:16
	global_store_dwordx4 v48, v[10:13], s[16:17] offset:32
	;; [unrolled: 1-line block ×3, first 2 shown]
	s_and_saveexec_b64 s[12:13], s[4:5]
	s_cbranch_execz .LBB1_130
; %bb.123:
	v_mov_b32_e32 v3, 0
	global_load_dwordx2 v[16:17], v3, s[10:11] offset:32 glc
	global_load_dwordx2 v[10:11], v3, s[10:11] offset:40
	v_mov_b32_e32 v14, s6
	v_mov_b32_e32 v15, s7
	s_waitcnt vmcnt(0)
	v_readfirstlane_b32 s14, v10
	v_readfirstlane_b32 s15, v11
	s_and_b64 s[14:15], s[14:15], s[6:7]
	s_mul_i32 s15, s15, 24
	s_mul_hi_u32 s16, s14, 24
	s_mul_i32 s14, s14, 24
	s_add_i32 s15, s16, s15
	v_mov_b32_e32 v10, s15
	v_add_co_u32_e32 v12, vcc, s14, v8
	v_addc_co_u32_e32 v13, vcc, v9, v10, vcc
	global_store_dwordx2 v[12:13], v[16:17], off
	buffer_wbl2
	s_waitcnt vmcnt(0)
	global_atomic_cmpswap_x2 v[10:11], v3, v[14:17], s[10:11] offset:32 glc
	s_waitcnt vmcnt(0)
	v_cmp_ne_u64_e32 vcc, v[10:11], v[16:17]
	s_and_saveexec_b64 s[14:15], vcc
	s_cbranch_execz .LBB1_126
; %bb.124:
	s_mov_b64 s[16:17], 0
.LBB1_125:                              ; =>This Inner Loop Header: Depth=1
	s_sleep 1
	global_store_dwordx2 v[12:13], v[10:11], off
	v_mov_b32_e32 v8, s6
	v_mov_b32_e32 v9, s7
	buffer_wbl2
	s_waitcnt vmcnt(0)
	global_atomic_cmpswap_x2 v[8:9], v3, v[8:11], s[10:11] offset:32 glc
	s_waitcnt vmcnt(0)
	v_cmp_eq_u64_e32 vcc, v[8:9], v[10:11]
	s_or_b64 s[16:17], vcc, s[16:17]
	v_pk_mov_b32 v[10:11], v[8:9], v[8:9] op_sel:[0,1]
	s_andn2_b64 exec, exec, s[16:17]
	s_cbranch_execnz .LBB1_125
.LBB1_126:
	s_or_b64 exec, exec, s[14:15]
	v_mov_b32_e32 v11, 0
	global_load_dwordx2 v[8:9], v11, s[10:11] offset:16
	s_mov_b64 s[14:15], exec
	v_mbcnt_lo_u32_b32 v3, s14, 0
	v_mbcnt_hi_u32_b32 v3, s15, v3
	v_cmp_eq_u32_e32 vcc, 0, v3
	s_and_saveexec_b64 s[16:17], vcc
	s_cbranch_execz .LBB1_128
; %bb.127:
	s_bcnt1_i32_b64 s14, s[14:15]
	v_mov_b32_e32 v10, s14
	buffer_wbl2
	s_waitcnt vmcnt(0)
	global_atomic_add_x2 v[8:9], v[10:11], off offset:8
.LBB1_128:
	s_or_b64 exec, exec, s[16:17]
	s_waitcnt vmcnt(0)
	global_load_dwordx2 v[10:11], v[8:9], off offset:16
	s_waitcnt vmcnt(0)
	v_cmp_eq_u64_e32 vcc, 0, v[10:11]
	s_cbranch_vccnz .LBB1_130
; %bb.129:
	global_load_dword v8, v[8:9], off offset:24
	v_mov_b32_e32 v9, 0
	s_waitcnt vmcnt(0)
	v_and_b32_e32 v3, 0xffffff, v8
	v_readfirstlane_b32 m0, v3
	buffer_wbl2
	global_store_dwordx2 v[10:11], v[8:9], off
	s_sendmsg sendmsg(MSG_INTERRUPT)
.LBB1_130:
	s_or_b64 exec, exec, s[12:13]
	s_branch .LBB1_134
.LBB1_131:                              ;   in Loop: Header=BB1_134 Depth=1
	s_or_b64 exec, exec, s[12:13]
	v_readfirstlane_b32 s12, v3
	s_cmp_eq_u32 s12, 0
	s_cbranch_scc1 .LBB1_133
; %bb.132:                              ;   in Loop: Header=BB1_134 Depth=1
	s_sleep 1
	s_cbranch_execnz .LBB1_134
	s_branch .LBB1_136
.LBB1_133:
	s_branch .LBB1_136
.LBB1_134:                              ; =>This Inner Loop Header: Depth=1
	v_mov_b32_e32 v3, 1
	s_and_saveexec_b64 s[12:13], s[4:5]
	s_cbranch_execz .LBB1_131
; %bb.135:                              ;   in Loop: Header=BB1_134 Depth=1
	global_load_dword v3, v[0:1], off offset:20 glc
	s_waitcnt vmcnt(0)
	buffer_invl2
	buffer_wbinvl1_vol
	v_and_b32_e32 v3, 1, v3
	s_branch .LBB1_131
.LBB1_136:
	global_load_dwordx2 v[8:9], v[4:5], off
	s_and_saveexec_b64 s[12:13], s[4:5]
	s_cbranch_execz .LBB1_139
; %bb.137:
	v_mov_b32_e32 v3, 0
	global_load_dwordx2 v[0:1], v3, s[10:11] offset:40
	global_load_dwordx2 v[4:5], v3, s[10:11] offset:24 glc
	global_load_dwordx2 v[14:15], v3, s[10:11]
	v_mov_b32_e32 v11, s7
	s_mov_b64 s[4:5], 0
	s_waitcnt vmcnt(2)
	v_add_co_u32_e32 v13, vcc, 1, v0
	v_addc_co_u32_e32 v16, vcc, 0, v1, vcc
	v_add_co_u32_e32 v10, vcc, s6, v13
	v_addc_co_u32_e32 v11, vcc, v16, v11, vcc
	v_cmp_eq_u64_e32 vcc, 0, v[10:11]
	v_cndmask_b32_e32 v11, v11, v16, vcc
	v_cndmask_b32_e32 v10, v10, v13, vcc
	v_and_b32_e32 v1, v11, v1
	v_and_b32_e32 v0, v10, v0
	v_mul_lo_u32 v1, v1, 24
	v_mul_hi_u32 v13, v0, 24
	v_mul_lo_u32 v0, v0, 24
	v_add_u32_e32 v1, v13, v1
	s_waitcnt vmcnt(0)
	v_add_co_u32_e32 v0, vcc, v14, v0
	v_addc_co_u32_e32 v1, vcc, v15, v1, vcc
	v_mov_b32_e32 v12, v4
	global_store_dwordx2 v[0:1], v[4:5], off
	v_mov_b32_e32 v13, v5
	buffer_wbl2
	s_waitcnt vmcnt(0)
	global_atomic_cmpswap_x2 v[12:13], v3, v[10:13], s[10:11] offset:24 glc
	s_waitcnt vmcnt(0)
	v_cmp_ne_u64_e32 vcc, v[12:13], v[4:5]
	s_and_b64 exec, exec, vcc
	s_cbranch_execz .LBB1_139
.LBB1_138:                              ; =>This Inner Loop Header: Depth=1
	s_sleep 1
	global_store_dwordx2 v[0:1], v[12:13], off
	buffer_wbl2
	s_waitcnt vmcnt(0)
	global_atomic_cmpswap_x2 v[4:5], v3, v[10:13], s[10:11] offset:24 glc
	s_waitcnt vmcnt(0)
	v_cmp_eq_u64_e32 vcc, v[4:5], v[12:13]
	s_or_b64 s[4:5], vcc, s[4:5]
	v_pk_mov_b32 v[12:13], v[4:5], v[4:5] op_sel:[0,1]
	s_andn2_b64 exec, exec, s[4:5]
	s_cbranch_execnz .LBB1_138
.LBB1_139:
	s_or_b64 exec, exec, s[12:13]
.LBB1_140:
	s_getpc_b64 s[6:7]
	s_add_u32 s6, s6, .str.1@rel32@lo+4
	s_addc_u32 s7, s7, .str.1@rel32@hi+12
	s_cmp_lg_u64 s[6:7], 0
	s_cbranch_scc0 .LBB1_224
; %bb.141:
	s_getpc_b64 s[4:5]
	s_add_u32 s4, s4, .str.1@rel32@lo+94
	s_addc_u32 s5, s5, .str.1@rel32@hi+102
	s_sub_i32 s12, s4, s6
	s_ashr_i32 s13, s12, 31
	s_waitcnt vmcnt(0)
	v_and_b32_e32 v0, 2, v8
	v_mov_b32_e32 v5, 0
	v_and_b32_e32 v10, -3, v8
	v_mov_b32_e32 v11, v9
	v_mov_b32_e32 v14, 2
	;; [unrolled: 1-line block ×3, first 2 shown]
	s_branch .LBB1_143
.LBB1_142:                              ;   in Loop: Header=BB1_143 Depth=1
	s_or_b64 exec, exec, s[18:19]
	s_sub_u32 s12, s12, s14
	s_subb_u32 s13, s13, s15
	s_add_u32 s6, s6, s14
	s_addc_u32 s7, s7, s15
	s_cmp_lg_u64 s[12:13], 0
	s_cbranch_scc0 .LBB1_225
.LBB1_143:                              ; =>This Loop Header: Depth=1
                                        ;     Child Loop BB1_146 Depth 2
                                        ;     Child Loop BB1_153 Depth 2
	;; [unrolled: 1-line block ×11, first 2 shown]
	v_cmp_lt_u64_e64 s[4:5], s[12:13], 56
	s_and_b64 s[4:5], s[4:5], exec
	v_cmp_gt_u64_e64 s[4:5], s[12:13], 7
	s_cselect_b32 s15, s13, 0
	s_cselect_b32 s14, s12, 56
	s_and_b64 vcc, exec, s[4:5]
	s_cbranch_vccnz .LBB1_148
; %bb.144:                              ;   in Loop: Header=BB1_143 Depth=1
	s_mov_b64 s[4:5], 0
	s_cmp_eq_u64 s[12:13], 0
	v_pk_mov_b32 v[18:19], 0, 0
	s_cbranch_scc1 .LBB1_147
; %bb.145:                              ;   in Loop: Header=BB1_143 Depth=1
	s_lshl_b64 s[16:17], s[14:15], 3
	s_mov_b64 s[18:19], 0
	v_pk_mov_b32 v[18:19], 0, 0
	s_mov_b64 s[20:21], s[6:7]
.LBB1_146:                              ;   Parent Loop BB1_143 Depth=1
                                        ; =>  This Inner Loop Header: Depth=2
	global_load_ubyte v1, v5, s[20:21]
	s_waitcnt vmcnt(0)
	v_and_b32_e32 v4, 0xffff, v1
	v_lshlrev_b64 v[12:13], s18, v[4:5]
	s_add_u32 s18, s18, 8
	s_addc_u32 s19, s19, 0
	s_add_u32 s20, s20, 1
	s_addc_u32 s21, s21, 0
	v_or_b32_e32 v18, v12, v18
	s_cmp_lg_u32 s16, s18
	v_or_b32_e32 v19, v13, v19
	s_cbranch_scc1 .LBB1_146
.LBB1_147:                              ;   in Loop: Header=BB1_143 Depth=1
	s_mov_b32 s20, 0
	s_andn2_b64 vcc, exec, s[4:5]
	s_mov_b64 s[4:5], s[6:7]
	s_cbranch_vccz .LBB1_149
	s_branch .LBB1_150
.LBB1_148:                              ;   in Loop: Header=BB1_143 Depth=1
                                        ; implicit-def: $vgpr18_vgpr19
                                        ; implicit-def: $sgpr20
	s_mov_b64 s[4:5], s[6:7]
.LBB1_149:                              ;   in Loop: Header=BB1_143 Depth=1
	global_load_dwordx2 v[18:19], v5, s[6:7]
	s_add_i32 s20, s14, -8
	s_add_u32 s4, s6, 8
	s_addc_u32 s5, s7, 0
.LBB1_150:                              ;   in Loop: Header=BB1_143 Depth=1
	s_cmp_gt_u32 s20, 7
	s_cbranch_scc1 .LBB1_154
; %bb.151:                              ;   in Loop: Header=BB1_143 Depth=1
	s_cmp_eq_u32 s20, 0
	s_cbranch_scc1 .LBB1_155
; %bb.152:                              ;   in Loop: Header=BB1_143 Depth=1
	s_mov_b64 s[16:17], 0
	v_pk_mov_b32 v[20:21], 0, 0
	s_mov_b64 s[18:19], 0
.LBB1_153:                              ;   Parent Loop BB1_143 Depth=1
                                        ; =>  This Inner Loop Header: Depth=2
	s_add_u32 s22, s4, s18
	s_addc_u32 s23, s5, s19
	global_load_ubyte v1, v5, s[22:23]
	s_add_u32 s18, s18, 1
	s_addc_u32 s19, s19, 0
	s_waitcnt vmcnt(0)
	v_and_b32_e32 v4, 0xffff, v1
	v_lshlrev_b64 v[12:13], s16, v[4:5]
	s_add_u32 s16, s16, 8
	s_addc_u32 s17, s17, 0
	v_or_b32_e32 v20, v12, v20
	s_cmp_lg_u32 s20, s18
	v_or_b32_e32 v21, v13, v21
	s_cbranch_scc1 .LBB1_153
	s_branch .LBB1_156
.LBB1_154:                              ;   in Loop: Header=BB1_143 Depth=1
                                        ; implicit-def: $vgpr20_vgpr21
                                        ; implicit-def: $sgpr21
	s_branch .LBB1_157
.LBB1_155:                              ;   in Loop: Header=BB1_143 Depth=1
	v_pk_mov_b32 v[20:21], 0, 0
.LBB1_156:                              ;   in Loop: Header=BB1_143 Depth=1
	s_mov_b32 s21, 0
	s_cbranch_execnz .LBB1_158
.LBB1_157:                              ;   in Loop: Header=BB1_143 Depth=1
	global_load_dwordx2 v[20:21], v5, s[4:5]
	s_add_i32 s21, s20, -8
	s_add_u32 s4, s4, 8
	s_addc_u32 s5, s5, 0
.LBB1_158:                              ;   in Loop: Header=BB1_143 Depth=1
	s_cmp_gt_u32 s21, 7
	s_cbranch_scc1 .LBB1_162
; %bb.159:                              ;   in Loop: Header=BB1_143 Depth=1
	s_cmp_eq_u32 s21, 0
	s_cbranch_scc1 .LBB1_163
; %bb.160:                              ;   in Loop: Header=BB1_143 Depth=1
	s_mov_b64 s[16:17], 0
	v_pk_mov_b32 v[22:23], 0, 0
	s_mov_b64 s[18:19], 0
.LBB1_161:                              ;   Parent Loop BB1_143 Depth=1
                                        ; =>  This Inner Loop Header: Depth=2
	s_add_u32 s22, s4, s18
	s_addc_u32 s23, s5, s19
	global_load_ubyte v1, v5, s[22:23]
	s_add_u32 s18, s18, 1
	s_addc_u32 s19, s19, 0
	s_waitcnt vmcnt(0)
	v_and_b32_e32 v4, 0xffff, v1
	v_lshlrev_b64 v[12:13], s16, v[4:5]
	s_add_u32 s16, s16, 8
	s_addc_u32 s17, s17, 0
	v_or_b32_e32 v22, v12, v22
	s_cmp_lg_u32 s21, s18
	v_or_b32_e32 v23, v13, v23
	s_cbranch_scc1 .LBB1_161
	s_branch .LBB1_164
.LBB1_162:                              ;   in Loop: Header=BB1_143 Depth=1
                                        ; implicit-def: $sgpr20
	s_branch .LBB1_165
.LBB1_163:                              ;   in Loop: Header=BB1_143 Depth=1
	v_pk_mov_b32 v[22:23], 0, 0
.LBB1_164:                              ;   in Loop: Header=BB1_143 Depth=1
	s_mov_b32 s20, 0
	s_cbranch_execnz .LBB1_166
.LBB1_165:                              ;   in Loop: Header=BB1_143 Depth=1
	global_load_dwordx2 v[22:23], v5, s[4:5]
	s_add_i32 s20, s21, -8
	s_add_u32 s4, s4, 8
	s_addc_u32 s5, s5, 0
.LBB1_166:                              ;   in Loop: Header=BB1_143 Depth=1
	s_cmp_gt_u32 s20, 7
	s_cbranch_scc1 .LBB1_170
; %bb.167:                              ;   in Loop: Header=BB1_143 Depth=1
	s_cmp_eq_u32 s20, 0
	s_cbranch_scc1 .LBB1_171
; %bb.168:                              ;   in Loop: Header=BB1_143 Depth=1
	s_mov_b64 s[16:17], 0
	v_pk_mov_b32 v[24:25], 0, 0
	s_mov_b64 s[18:19], 0
.LBB1_169:                              ;   Parent Loop BB1_143 Depth=1
                                        ; =>  This Inner Loop Header: Depth=2
	s_add_u32 s22, s4, s18
	s_addc_u32 s23, s5, s19
	global_load_ubyte v1, v5, s[22:23]
	s_add_u32 s18, s18, 1
	s_addc_u32 s19, s19, 0
	s_waitcnt vmcnt(0)
	v_and_b32_e32 v4, 0xffff, v1
	v_lshlrev_b64 v[12:13], s16, v[4:5]
	s_add_u32 s16, s16, 8
	s_addc_u32 s17, s17, 0
	v_or_b32_e32 v24, v12, v24
	s_cmp_lg_u32 s20, s18
	v_or_b32_e32 v25, v13, v25
	s_cbranch_scc1 .LBB1_169
	s_branch .LBB1_172
.LBB1_170:                              ;   in Loop: Header=BB1_143 Depth=1
                                        ; implicit-def: $vgpr24_vgpr25
                                        ; implicit-def: $sgpr21
	s_branch .LBB1_173
.LBB1_171:                              ;   in Loop: Header=BB1_143 Depth=1
	v_pk_mov_b32 v[24:25], 0, 0
.LBB1_172:                              ;   in Loop: Header=BB1_143 Depth=1
	s_mov_b32 s21, 0
	s_cbranch_execnz .LBB1_174
.LBB1_173:                              ;   in Loop: Header=BB1_143 Depth=1
	global_load_dwordx2 v[24:25], v5, s[4:5]
	s_add_i32 s21, s20, -8
	s_add_u32 s4, s4, 8
	s_addc_u32 s5, s5, 0
.LBB1_174:                              ;   in Loop: Header=BB1_143 Depth=1
	s_cmp_gt_u32 s21, 7
	s_cbranch_scc1 .LBB1_178
; %bb.175:                              ;   in Loop: Header=BB1_143 Depth=1
	s_cmp_eq_u32 s21, 0
	s_cbranch_scc1 .LBB1_179
; %bb.176:                              ;   in Loop: Header=BB1_143 Depth=1
	s_mov_b64 s[16:17], 0
	v_pk_mov_b32 v[26:27], 0, 0
	s_mov_b64 s[18:19], 0
.LBB1_177:                              ;   Parent Loop BB1_143 Depth=1
                                        ; =>  This Inner Loop Header: Depth=2
	s_add_u32 s22, s4, s18
	s_addc_u32 s23, s5, s19
	global_load_ubyte v1, v5, s[22:23]
	s_add_u32 s18, s18, 1
	s_addc_u32 s19, s19, 0
	s_waitcnt vmcnt(0)
	v_and_b32_e32 v4, 0xffff, v1
	v_lshlrev_b64 v[12:13], s16, v[4:5]
	s_add_u32 s16, s16, 8
	s_addc_u32 s17, s17, 0
	v_or_b32_e32 v26, v12, v26
	s_cmp_lg_u32 s21, s18
	v_or_b32_e32 v27, v13, v27
	s_cbranch_scc1 .LBB1_177
	s_branch .LBB1_180
.LBB1_178:                              ;   in Loop: Header=BB1_143 Depth=1
                                        ; implicit-def: $sgpr20
	s_branch .LBB1_181
.LBB1_179:                              ;   in Loop: Header=BB1_143 Depth=1
	v_pk_mov_b32 v[26:27], 0, 0
.LBB1_180:                              ;   in Loop: Header=BB1_143 Depth=1
	s_mov_b32 s20, 0
	s_cbranch_execnz .LBB1_182
.LBB1_181:                              ;   in Loop: Header=BB1_143 Depth=1
	global_load_dwordx2 v[26:27], v5, s[4:5]
	s_add_i32 s20, s21, -8
	s_add_u32 s4, s4, 8
	s_addc_u32 s5, s5, 0
.LBB1_182:                              ;   in Loop: Header=BB1_143 Depth=1
	s_cmp_gt_u32 s20, 7
	s_cbranch_scc1 .LBB1_186
; %bb.183:                              ;   in Loop: Header=BB1_143 Depth=1
	s_cmp_eq_u32 s20, 0
	s_cbranch_scc1 .LBB1_187
; %bb.184:                              ;   in Loop: Header=BB1_143 Depth=1
	s_mov_b64 s[16:17], 0
	v_pk_mov_b32 v[28:29], 0, 0
	s_mov_b64 s[18:19], 0
.LBB1_185:                              ;   Parent Loop BB1_143 Depth=1
                                        ; =>  This Inner Loop Header: Depth=2
	s_add_u32 s22, s4, s18
	s_addc_u32 s23, s5, s19
	global_load_ubyte v1, v5, s[22:23]
	s_add_u32 s18, s18, 1
	s_addc_u32 s19, s19, 0
	s_waitcnt vmcnt(0)
	v_and_b32_e32 v4, 0xffff, v1
	v_lshlrev_b64 v[12:13], s16, v[4:5]
	s_add_u32 s16, s16, 8
	s_addc_u32 s17, s17, 0
	v_or_b32_e32 v28, v12, v28
	s_cmp_lg_u32 s20, s18
	v_or_b32_e32 v29, v13, v29
	s_cbranch_scc1 .LBB1_185
	s_branch .LBB1_188
.LBB1_186:                              ;   in Loop: Header=BB1_143 Depth=1
                                        ; implicit-def: $vgpr28_vgpr29
                                        ; implicit-def: $sgpr21
	s_branch .LBB1_189
.LBB1_187:                              ;   in Loop: Header=BB1_143 Depth=1
	v_pk_mov_b32 v[28:29], 0, 0
.LBB1_188:                              ;   in Loop: Header=BB1_143 Depth=1
	s_mov_b32 s21, 0
	s_cbranch_execnz .LBB1_190
.LBB1_189:                              ;   in Loop: Header=BB1_143 Depth=1
	global_load_dwordx2 v[28:29], v5, s[4:5]
	s_add_i32 s21, s20, -8
	s_add_u32 s4, s4, 8
	s_addc_u32 s5, s5, 0
.LBB1_190:                              ;   in Loop: Header=BB1_143 Depth=1
	s_cmp_gt_u32 s21, 7
	s_cbranch_scc1 .LBB1_194
; %bb.191:                              ;   in Loop: Header=BB1_143 Depth=1
	s_cmp_eq_u32 s21, 0
	s_cbranch_scc1 .LBB1_195
; %bb.192:                              ;   in Loop: Header=BB1_143 Depth=1
	s_mov_b64 s[16:17], 0
	v_pk_mov_b32 v[30:31], 0, 0
	s_mov_b64 s[18:19], s[4:5]
.LBB1_193:                              ;   Parent Loop BB1_143 Depth=1
                                        ; =>  This Inner Loop Header: Depth=2
	global_load_ubyte v1, v5, s[18:19]
	s_add_i32 s21, s21, -1
	s_waitcnt vmcnt(0)
	v_and_b32_e32 v4, 0xffff, v1
	v_lshlrev_b64 v[12:13], s16, v[4:5]
	s_add_u32 s16, s16, 8
	s_addc_u32 s17, s17, 0
	s_add_u32 s18, s18, 1
	s_addc_u32 s19, s19, 0
	v_or_b32_e32 v30, v12, v30
	s_cmp_lg_u32 s21, 0
	v_or_b32_e32 v31, v13, v31
	s_cbranch_scc1 .LBB1_193
	s_branch .LBB1_196
.LBB1_194:                              ;   in Loop: Header=BB1_143 Depth=1
	s_branch .LBB1_197
.LBB1_195:                              ;   in Loop: Header=BB1_143 Depth=1
	v_pk_mov_b32 v[30:31], 0, 0
.LBB1_196:                              ;   in Loop: Header=BB1_143 Depth=1
	s_cbranch_execnz .LBB1_198
.LBB1_197:                              ;   in Loop: Header=BB1_143 Depth=1
	global_load_dwordx2 v[30:31], v5, s[4:5]
.LBB1_198:                              ;   in Loop: Header=BB1_143 Depth=1
	v_readfirstlane_b32 s4, v49
	v_cmp_eq_u32_e64 s[4:5], s4, v49
	s_waitcnt vmcnt(0)
	v_pk_mov_b32 v[12:13], 0, 0
	s_and_saveexec_b64 s[16:17], s[4:5]
	s_cbranch_execz .LBB1_204
; %bb.199:                              ;   in Loop: Header=BB1_143 Depth=1
	global_load_dwordx2 v[34:35], v5, s[10:11] offset:24 glc
	s_waitcnt vmcnt(0)
	buffer_invl2
	buffer_wbinvl1_vol
	global_load_dwordx2 v[12:13], v5, s[10:11] offset:40
	global_load_dwordx2 v[16:17], v5, s[10:11]
	s_waitcnt vmcnt(1)
	v_and_b32_e32 v1, v12, v34
	v_and_b32_e32 v3, v13, v35
	v_mul_lo_u32 v3, v3, 24
	v_mul_hi_u32 v4, v1, 24
	v_mul_lo_u32 v1, v1, 24
	v_add_u32_e32 v3, v4, v3
	s_waitcnt vmcnt(0)
	v_add_co_u32_e32 v12, vcc, v16, v1
	v_addc_co_u32_e32 v13, vcc, v17, v3, vcc
	global_load_dwordx2 v[32:33], v[12:13], off glc
	s_waitcnt vmcnt(0)
	global_atomic_cmpswap_x2 v[12:13], v5, v[32:35], s[10:11] offset:24 glc
	s_waitcnt vmcnt(0)
	buffer_invl2
	buffer_wbinvl1_vol
	v_cmp_ne_u64_e32 vcc, v[12:13], v[34:35]
	s_and_saveexec_b64 s[18:19], vcc
	s_cbranch_execz .LBB1_203
; %bb.200:                              ;   in Loop: Header=BB1_143 Depth=1
	s_mov_b64 s[20:21], 0
.LBB1_201:                              ;   Parent Loop BB1_143 Depth=1
                                        ; =>  This Inner Loop Header: Depth=2
	s_sleep 1
	global_load_dwordx2 v[16:17], v5, s[10:11] offset:40
	global_load_dwordx2 v[32:33], v5, s[10:11]
	v_pk_mov_b32 v[34:35], v[12:13], v[12:13] op_sel:[0,1]
	s_waitcnt vmcnt(1)
	v_and_b32_e32 v3, v16, v34
	s_waitcnt vmcnt(0)
	v_mad_u64_u32 v[12:13], s[22:23], v3, 24, v[32:33]
	v_and_b32_e32 v1, v17, v35
	v_mov_b32_e32 v4, v13
	v_mad_u64_u32 v[16:17], s[22:23], v1, 24, v[4:5]
	v_mov_b32_e32 v13, v16
	global_load_dwordx2 v[32:33], v[12:13], off glc
	s_waitcnt vmcnt(0)
	global_atomic_cmpswap_x2 v[12:13], v5, v[32:35], s[10:11] offset:24 glc
	s_waitcnt vmcnt(0)
	buffer_invl2
	buffer_wbinvl1_vol
	v_cmp_eq_u64_e32 vcc, v[12:13], v[34:35]
	s_or_b64 s[20:21], vcc, s[20:21]
	s_andn2_b64 exec, exec, s[20:21]
	s_cbranch_execnz .LBB1_201
; %bb.202:                              ;   in Loop: Header=BB1_143 Depth=1
	s_or_b64 exec, exec, s[20:21]
.LBB1_203:                              ;   in Loop: Header=BB1_143 Depth=1
	s_or_b64 exec, exec, s[18:19]
.LBB1_204:                              ;   in Loop: Header=BB1_143 Depth=1
	s_or_b64 exec, exec, s[16:17]
	global_load_dwordx2 v[16:17], v5, s[10:11] offset:40
	global_load_dwordx4 v[32:35], v5, s[10:11]
	v_readfirstlane_b32 s16, v12
	v_readfirstlane_b32 s17, v13
	s_mov_b64 s[18:19], exec
	s_waitcnt vmcnt(1)
	v_readfirstlane_b32 s20, v16
	v_readfirstlane_b32 s21, v17
	s_and_b64 s[20:21], s[16:17], s[20:21]
	s_mul_i32 s22, s21, 24
	s_mul_hi_u32 s23, s20, 24
	s_mul_i32 s24, s20, 24
	s_add_i32 s22, s23, s22
	v_mov_b32_e32 v1, s22
	s_waitcnt vmcnt(0)
	v_add_co_u32_e32 v38, vcc, s24, v32
	v_addc_co_u32_e32 v39, vcc, v33, v1, vcc
	s_and_saveexec_b64 s[22:23], s[4:5]
	s_cbranch_execz .LBB1_206
; %bb.205:                              ;   in Loop: Header=BB1_143 Depth=1
	v_pk_mov_b32 v[12:13], s[18:19], s[18:19] op_sel:[0,1]
	global_store_dwordx4 v[38:39], v[12:15], off offset:8
.LBB1_206:                              ;   in Loop: Header=BB1_143 Depth=1
	s_or_b64 exec, exec, s[22:23]
	s_lshl_b64 s[18:19], s[20:21], 12
	v_mov_b32_e32 v1, s19
	v_add_co_u32_e32 v34, vcc, s18, v34
	v_addc_co_u32_e32 v1, vcc, v35, v1, vcc
	v_or_b32_e32 v3, 0, v11
	v_or_b32_e32 v4, v10, v0
	v_cmp_gt_u64_e64 vcc, s[12:13], 56
	s_lshl_b32 s18, s14, 2
	v_cndmask_b32_e32 v17, v3, v11, vcc
	v_cndmask_b32_e32 v3, v4, v10, vcc
	s_add_i32 s18, s18, 28
	s_and_b32 s18, s18, 0x1e0
	v_and_b32_e32 v3, 0xffffff1f, v3
	v_or_b32_e32 v16, s18, v3
	v_readfirstlane_b32 s18, v34
	v_readfirstlane_b32 s19, v1
	s_nop 4
	global_store_dwordx4 v48, v[16:19], s[18:19]
	global_store_dwordx4 v48, v[20:23], s[18:19] offset:16
	global_store_dwordx4 v48, v[24:27], s[18:19] offset:32
	;; [unrolled: 1-line block ×3, first 2 shown]
	s_and_saveexec_b64 s[18:19], s[4:5]
	s_cbranch_execz .LBB1_214
; %bb.207:                              ;   in Loop: Header=BB1_143 Depth=1
	global_load_dwordx2 v[20:21], v5, s[10:11] offset:32 glc
	global_load_dwordx2 v[10:11], v5, s[10:11] offset:40
	v_mov_b32_e32 v18, s16
	v_mov_b32_e32 v19, s17
	s_waitcnt vmcnt(0)
	v_readfirstlane_b32 s20, v10
	v_readfirstlane_b32 s21, v11
	s_and_b64 s[20:21], s[20:21], s[16:17]
	s_mul_i32 s21, s21, 24
	s_mul_hi_u32 s22, s20, 24
	s_mul_i32 s20, s20, 24
	s_add_i32 s21, s22, s21
	v_mov_b32_e32 v3, s21
	v_add_co_u32_e32 v16, vcc, s20, v32
	v_addc_co_u32_e32 v17, vcc, v33, v3, vcc
	global_store_dwordx2 v[16:17], v[20:21], off
	buffer_wbl2
	s_waitcnt vmcnt(0)
	global_atomic_cmpswap_x2 v[12:13], v5, v[18:21], s[10:11] offset:32 glc
	s_waitcnt vmcnt(0)
	v_cmp_ne_u64_e32 vcc, v[12:13], v[20:21]
	s_and_saveexec_b64 s[20:21], vcc
	s_cbranch_execz .LBB1_210
; %bb.208:                              ;   in Loop: Header=BB1_143 Depth=1
	s_mov_b64 s[22:23], 0
.LBB1_209:                              ;   Parent Loop BB1_143 Depth=1
                                        ; =>  This Inner Loop Header: Depth=2
	s_sleep 1
	global_store_dwordx2 v[16:17], v[12:13], off
	v_mov_b32_e32 v10, s16
	v_mov_b32_e32 v11, s17
	buffer_wbl2
	s_waitcnt vmcnt(0)
	global_atomic_cmpswap_x2 v[10:11], v5, v[10:13], s[10:11] offset:32 glc
	s_waitcnt vmcnt(0)
	v_cmp_eq_u64_e32 vcc, v[10:11], v[12:13]
	s_or_b64 s[22:23], vcc, s[22:23]
	v_pk_mov_b32 v[12:13], v[10:11], v[10:11] op_sel:[0,1]
	s_andn2_b64 exec, exec, s[22:23]
	s_cbranch_execnz .LBB1_209
.LBB1_210:                              ;   in Loop: Header=BB1_143 Depth=1
	s_or_b64 exec, exec, s[20:21]
	global_load_dwordx2 v[10:11], v5, s[10:11] offset:16
	s_mov_b64 s[22:23], exec
	v_mbcnt_lo_u32_b32 v3, s22, 0
	v_mbcnt_hi_u32_b32 v3, s23, v3
	v_cmp_eq_u32_e32 vcc, 0, v3
	s_and_saveexec_b64 s[20:21], vcc
	s_cbranch_execz .LBB1_212
; %bb.211:                              ;   in Loop: Header=BB1_143 Depth=1
	s_bcnt1_i32_b64 s22, s[22:23]
	v_mov_b32_e32 v4, s22
	buffer_wbl2
	s_waitcnt vmcnt(0)
	global_atomic_add_x2 v[10:11], v[4:5], off offset:8
.LBB1_212:                              ;   in Loop: Header=BB1_143 Depth=1
	s_or_b64 exec, exec, s[20:21]
	s_waitcnt vmcnt(0)
	global_load_dwordx2 v[12:13], v[10:11], off offset:16
	s_waitcnt vmcnt(0)
	v_cmp_eq_u64_e32 vcc, 0, v[12:13]
	s_cbranch_vccnz .LBB1_214
; %bb.213:                              ;   in Loop: Header=BB1_143 Depth=1
	global_load_dword v4, v[10:11], off offset:24
	s_waitcnt vmcnt(0)
	v_and_b32_e32 v3, 0xffffff, v4
	v_readfirstlane_b32 m0, v3
	buffer_wbl2
	global_store_dwordx2 v[12:13], v[4:5], off
	s_sendmsg sendmsg(MSG_INTERRUPT)
.LBB1_214:                              ;   in Loop: Header=BB1_143 Depth=1
	s_or_b64 exec, exec, s[18:19]
	v_add_co_u32_e32 v10, vcc, v34, v48
	v_addc_co_u32_e32 v11, vcc, 0, v1, vcc
	s_branch .LBB1_218
.LBB1_215:                              ;   in Loop: Header=BB1_218 Depth=2
	s_or_b64 exec, exec, s[18:19]
	v_readfirstlane_b32 s18, v1
	s_cmp_eq_u32 s18, 0
	s_cbranch_scc1 .LBB1_217
; %bb.216:                              ;   in Loop: Header=BB1_218 Depth=2
	s_sleep 1
	s_cbranch_execnz .LBB1_218
	s_branch .LBB1_220
.LBB1_217:                              ;   in Loop: Header=BB1_143 Depth=1
	s_branch .LBB1_220
.LBB1_218:                              ;   Parent Loop BB1_143 Depth=1
                                        ; =>  This Inner Loop Header: Depth=2
	v_mov_b32_e32 v1, 1
	s_and_saveexec_b64 s[18:19], s[4:5]
	s_cbranch_execz .LBB1_215
; %bb.219:                              ;   in Loop: Header=BB1_218 Depth=2
	global_load_dword v1, v[38:39], off offset:20 glc
	s_waitcnt vmcnt(0)
	buffer_invl2
	buffer_wbinvl1_vol
	v_and_b32_e32 v1, 1, v1
	s_branch .LBB1_215
.LBB1_220:                              ;   in Loop: Header=BB1_143 Depth=1
	global_load_dwordx4 v[10:13], v[10:11], off
	s_and_saveexec_b64 s[18:19], s[4:5]
	s_cbranch_execz .LBB1_142
; %bb.221:                              ;   in Loop: Header=BB1_143 Depth=1
	global_load_dwordx2 v[12:13], v5, s[10:11] offset:40
	global_load_dwordx2 v[20:21], v5, s[10:11] offset:24 glc
	global_load_dwordx2 v[22:23], v5, s[10:11]
	v_mov_b32_e32 v1, s17
	s_waitcnt vmcnt(2)
	v_add_co_u32_e32 v3, vcc, 1, v12
	v_addc_co_u32_e32 v4, vcc, 0, v13, vcc
	v_add_co_u32_e32 v16, vcc, s16, v3
	v_addc_co_u32_e32 v17, vcc, v4, v1, vcc
	v_cmp_eq_u64_e32 vcc, 0, v[16:17]
	v_cndmask_b32_e32 v17, v17, v4, vcc
	v_cndmask_b32_e32 v16, v16, v3, vcc
	v_and_b32_e32 v1, v17, v13
	v_and_b32_e32 v3, v16, v12
	v_mul_lo_u32 v1, v1, 24
	v_mul_hi_u32 v4, v3, 24
	v_mul_lo_u32 v3, v3, 24
	v_add_u32_e32 v1, v4, v1
	s_waitcnt vmcnt(0)
	v_add_co_u32_e32 v12, vcc, v22, v3
	v_addc_co_u32_e32 v13, vcc, v23, v1, vcc
	v_mov_b32_e32 v18, v20
	global_store_dwordx2 v[12:13], v[20:21], off
	v_mov_b32_e32 v19, v21
	buffer_wbl2
	s_waitcnt vmcnt(0)
	global_atomic_cmpswap_x2 v[18:19], v5, v[16:19], s[10:11] offset:24 glc
	s_waitcnt vmcnt(0)
	v_cmp_ne_u64_e32 vcc, v[18:19], v[20:21]
	s_and_b64 exec, exec, vcc
	s_cbranch_execz .LBB1_142
; %bb.222:                              ;   in Loop: Header=BB1_143 Depth=1
	s_mov_b64 s[4:5], 0
.LBB1_223:                              ;   Parent Loop BB1_143 Depth=1
                                        ; =>  This Inner Loop Header: Depth=2
	s_sleep 1
	global_store_dwordx2 v[12:13], v[18:19], off
	buffer_wbl2
	s_waitcnt vmcnt(0)
	global_atomic_cmpswap_x2 v[20:21], v5, v[16:19], s[10:11] offset:24 glc
	s_waitcnt vmcnt(0)
	v_cmp_eq_u64_e32 vcc, v[20:21], v[18:19]
	s_or_b64 s[4:5], vcc, s[4:5]
	v_pk_mov_b32 v[18:19], v[20:21], v[20:21] op_sel:[0,1]
	s_andn2_b64 exec, exec, s[4:5]
	s_cbranch_execnz .LBB1_223
	s_branch .LBB1_142
.LBB1_224:
                                        ; implicit-def: $vgpr10_vgpr11
	s_cbranch_execnz .LBB1_226
	s_branch .LBB1_252
.LBB1_225:
	s_branch .LBB1_252
.LBB1_226:
	v_readfirstlane_b32 s4, v49
	v_cmp_eq_u32_e64 s[4:5], s4, v49
	v_pk_mov_b32 v[0:1], 0, 0
	s_and_saveexec_b64 s[6:7], s[4:5]
	s_cbranch_execz .LBB1_232
; %bb.227:
	v_mov_b32_e32 v3, 0
	global_load_dwordx2 v[12:13], v3, s[10:11] offset:24 glc
	s_waitcnt vmcnt(0)
	buffer_invl2
	buffer_wbinvl1_vol
	global_load_dwordx2 v[0:1], v3, s[10:11] offset:40
	global_load_dwordx2 v[4:5], v3, s[10:11]
	s_waitcnt vmcnt(1)
	v_and_b32_e32 v0, v0, v12
	v_and_b32_e32 v1, v1, v13
	v_mul_lo_u32 v1, v1, 24
	v_mul_hi_u32 v10, v0, 24
	v_mul_lo_u32 v0, v0, 24
	v_add_u32_e32 v1, v10, v1
	s_waitcnt vmcnt(0)
	v_add_co_u32_e32 v0, vcc, v4, v0
	v_addc_co_u32_e32 v1, vcc, v5, v1, vcc
	global_load_dwordx2 v[10:11], v[0:1], off glc
	s_waitcnt vmcnt(0)
	global_atomic_cmpswap_x2 v[0:1], v3, v[10:13], s[10:11] offset:24 glc
	s_waitcnt vmcnt(0)
	buffer_invl2
	buffer_wbinvl1_vol
	v_cmp_ne_u64_e32 vcc, v[0:1], v[12:13]
	s_and_saveexec_b64 s[12:13], vcc
	s_cbranch_execz .LBB1_231
; %bb.228:
	s_mov_b64 s[14:15], 0
.LBB1_229:                              ; =>This Inner Loop Header: Depth=1
	s_sleep 1
	global_load_dwordx2 v[4:5], v3, s[10:11] offset:40
	global_load_dwordx2 v[10:11], v3, s[10:11]
	v_pk_mov_b32 v[12:13], v[0:1], v[0:1] op_sel:[0,1]
	s_waitcnt vmcnt(1)
	v_and_b32_e32 v0, v4, v12
	s_waitcnt vmcnt(0)
	v_mad_u64_u32 v[0:1], s[16:17], v0, 24, v[10:11]
	v_and_b32_e32 v5, v5, v13
	v_mov_b32_e32 v4, v1
	v_mad_u64_u32 v[4:5], s[16:17], v5, 24, v[4:5]
	v_mov_b32_e32 v1, v4
	global_load_dwordx2 v[10:11], v[0:1], off glc
	s_waitcnt vmcnt(0)
	global_atomic_cmpswap_x2 v[0:1], v3, v[10:13], s[10:11] offset:24 glc
	s_waitcnt vmcnt(0)
	buffer_invl2
	buffer_wbinvl1_vol
	v_cmp_eq_u64_e32 vcc, v[0:1], v[12:13]
	s_or_b64 s[14:15], vcc, s[14:15]
	s_andn2_b64 exec, exec, s[14:15]
	s_cbranch_execnz .LBB1_229
; %bb.230:
	s_or_b64 exec, exec, s[14:15]
.LBB1_231:
	s_or_b64 exec, exec, s[12:13]
.LBB1_232:
	s_or_b64 exec, exec, s[6:7]
	s_waitcnt vmcnt(0)
	v_mov_b32_e32 v10, 0
	global_load_dwordx2 v[4:5], v10, s[10:11] offset:40
	global_load_dwordx4 v[12:15], v10, s[10:11]
	v_readfirstlane_b32 s6, v0
	v_readfirstlane_b32 s7, v1
	s_mov_b64 s[12:13], exec
	s_waitcnt vmcnt(1)
	v_readfirstlane_b32 s14, v4
	v_readfirstlane_b32 s15, v5
	s_and_b64 s[14:15], s[6:7], s[14:15]
	s_mul_i32 s16, s15, 24
	s_mul_hi_u32 s17, s14, 24
	s_mul_i32 s18, s14, 24
	s_add_i32 s16, s17, s16
	v_mov_b32_e32 v1, s16
	s_waitcnt vmcnt(0)
	v_add_co_u32_e32 v0, vcc, s18, v12
	v_addc_co_u32_e32 v1, vcc, v13, v1, vcc
	s_and_saveexec_b64 s[16:17], s[4:5]
	s_cbranch_execz .LBB1_234
; %bb.233:
	v_pk_mov_b32 v[16:17], s[12:13], s[12:13] op_sel:[0,1]
	v_mov_b32_e32 v18, 2
	v_mov_b32_e32 v19, 1
	global_store_dwordx4 v[0:1], v[16:19], off offset:8
.LBB1_234:
	s_or_b64 exec, exec, s[16:17]
	s_lshl_b64 s[12:13], s[14:15], 12
	v_mov_b32_e32 v3, s13
	v_add_co_u32_e32 v14, vcc, s12, v14
	s_movk_i32 s12, 0xff1f
	v_addc_co_u32_e32 v3, vcc, v15, v3, vcc
	v_and_or_b32 v8, v8, s12, 32
	s_mov_b32 s12, 0
	v_mov_b32_e32 v11, v10
	v_readfirstlane_b32 s16, v14
	v_readfirstlane_b32 s17, v3
	s_mov_b32 s13, s12
	v_add_co_u32_e32 v4, vcc, v14, v48
	s_mov_b32 s14, s12
	s_mov_b32 s15, s12
	s_nop 0
	global_store_dwordx4 v48, v[8:11], s[16:17]
	v_addc_co_u32_e32 v5, vcc, 0, v3, vcc
	v_pk_mov_b32 v[8:9], s[12:13], s[12:13] op_sel:[0,1]
	v_pk_mov_b32 v[10:11], s[14:15], s[14:15] op_sel:[0,1]
	global_store_dwordx4 v48, v[8:11], s[16:17] offset:16
	global_store_dwordx4 v48, v[8:11], s[16:17] offset:32
	;; [unrolled: 1-line block ×3, first 2 shown]
	s_and_saveexec_b64 s[12:13], s[4:5]
	s_cbranch_execz .LBB1_242
; %bb.235:
	v_mov_b32_e32 v3, 0
	global_load_dwordx2 v[16:17], v3, s[10:11] offset:32 glc
	global_load_dwordx2 v[8:9], v3, s[10:11] offset:40
	v_mov_b32_e32 v14, s6
	v_mov_b32_e32 v15, s7
	s_waitcnt vmcnt(0)
	v_readfirstlane_b32 s14, v8
	v_readfirstlane_b32 s15, v9
	s_and_b64 s[14:15], s[14:15], s[6:7]
	s_mul_i32 s15, s15, 24
	s_mul_hi_u32 s16, s14, 24
	s_mul_i32 s14, s14, 24
	s_add_i32 s15, s16, s15
	v_mov_b32_e32 v8, s15
	v_add_co_u32_e32 v12, vcc, s14, v12
	v_addc_co_u32_e32 v13, vcc, v13, v8, vcc
	global_store_dwordx2 v[12:13], v[16:17], off
	buffer_wbl2
	s_waitcnt vmcnt(0)
	global_atomic_cmpswap_x2 v[10:11], v3, v[14:17], s[10:11] offset:32 glc
	s_waitcnt vmcnt(0)
	v_cmp_ne_u64_e32 vcc, v[10:11], v[16:17]
	s_and_saveexec_b64 s[14:15], vcc
	s_cbranch_execz .LBB1_238
; %bb.236:
	s_mov_b64 s[16:17], 0
.LBB1_237:                              ; =>This Inner Loop Header: Depth=1
	s_sleep 1
	global_store_dwordx2 v[12:13], v[10:11], off
	v_mov_b32_e32 v8, s6
	v_mov_b32_e32 v9, s7
	buffer_wbl2
	s_waitcnt vmcnt(0)
	global_atomic_cmpswap_x2 v[8:9], v3, v[8:11], s[10:11] offset:32 glc
	s_waitcnt vmcnt(0)
	v_cmp_eq_u64_e32 vcc, v[8:9], v[10:11]
	s_or_b64 s[16:17], vcc, s[16:17]
	v_pk_mov_b32 v[10:11], v[8:9], v[8:9] op_sel:[0,1]
	s_andn2_b64 exec, exec, s[16:17]
	s_cbranch_execnz .LBB1_237
.LBB1_238:
	s_or_b64 exec, exec, s[14:15]
	v_mov_b32_e32 v11, 0
	global_load_dwordx2 v[8:9], v11, s[10:11] offset:16
	s_mov_b64 s[14:15], exec
	v_mbcnt_lo_u32_b32 v3, s14, 0
	v_mbcnt_hi_u32_b32 v3, s15, v3
	v_cmp_eq_u32_e32 vcc, 0, v3
	s_and_saveexec_b64 s[16:17], vcc
	s_cbranch_execz .LBB1_240
; %bb.239:
	s_bcnt1_i32_b64 s14, s[14:15]
	v_mov_b32_e32 v10, s14
	buffer_wbl2
	s_waitcnt vmcnt(0)
	global_atomic_add_x2 v[8:9], v[10:11], off offset:8
.LBB1_240:
	s_or_b64 exec, exec, s[16:17]
	s_waitcnt vmcnt(0)
	global_load_dwordx2 v[10:11], v[8:9], off offset:16
	s_waitcnt vmcnt(0)
	v_cmp_eq_u64_e32 vcc, 0, v[10:11]
	s_cbranch_vccnz .LBB1_242
; %bb.241:
	global_load_dword v8, v[8:9], off offset:24
	v_mov_b32_e32 v9, 0
	s_waitcnt vmcnt(0)
	v_and_b32_e32 v3, 0xffffff, v8
	v_readfirstlane_b32 m0, v3
	buffer_wbl2
	global_store_dwordx2 v[10:11], v[8:9], off
	s_sendmsg sendmsg(MSG_INTERRUPT)
.LBB1_242:
	s_or_b64 exec, exec, s[12:13]
	s_branch .LBB1_246
.LBB1_243:                              ;   in Loop: Header=BB1_246 Depth=1
	s_or_b64 exec, exec, s[12:13]
	v_readfirstlane_b32 s12, v3
	s_cmp_eq_u32 s12, 0
	s_cbranch_scc1 .LBB1_245
; %bb.244:                              ;   in Loop: Header=BB1_246 Depth=1
	s_sleep 1
	s_cbranch_execnz .LBB1_246
	s_branch .LBB1_248
.LBB1_245:
	s_branch .LBB1_248
.LBB1_246:                              ; =>This Inner Loop Header: Depth=1
	v_mov_b32_e32 v3, 1
	s_and_saveexec_b64 s[12:13], s[4:5]
	s_cbranch_execz .LBB1_243
; %bb.247:                              ;   in Loop: Header=BB1_246 Depth=1
	global_load_dword v3, v[0:1], off offset:20 glc
	s_waitcnt vmcnt(0)
	buffer_invl2
	buffer_wbinvl1_vol
	v_and_b32_e32 v3, 1, v3
	s_branch .LBB1_243
.LBB1_248:
	global_load_dwordx2 v[10:11], v[4:5], off
	s_and_saveexec_b64 s[12:13], s[4:5]
	s_cbranch_execz .LBB1_251
; %bb.249:
	v_mov_b32_e32 v3, 0
	global_load_dwordx2 v[0:1], v3, s[10:11] offset:40
	global_load_dwordx2 v[4:5], v3, s[10:11] offset:24 glc
	global_load_dwordx2 v[8:9], v3, s[10:11]
	v_mov_b32_e32 v13, s7
	s_mov_b64 s[4:5], 0
	s_waitcnt vmcnt(2)
	v_add_co_u32_e32 v15, vcc, 1, v0
	v_addc_co_u32_e32 v16, vcc, 0, v1, vcc
	v_add_co_u32_e32 v12, vcc, s6, v15
	v_addc_co_u32_e32 v13, vcc, v16, v13, vcc
	v_cmp_eq_u64_e32 vcc, 0, v[12:13]
	v_cndmask_b32_e32 v13, v13, v16, vcc
	v_cndmask_b32_e32 v12, v12, v15, vcc
	v_and_b32_e32 v1, v13, v1
	v_and_b32_e32 v0, v12, v0
	v_mul_lo_u32 v1, v1, 24
	v_mul_hi_u32 v15, v0, 24
	v_mul_lo_u32 v0, v0, 24
	v_add_u32_e32 v1, v15, v1
	s_waitcnt vmcnt(0)
	v_add_co_u32_e32 v0, vcc, v8, v0
	v_addc_co_u32_e32 v1, vcc, v9, v1, vcc
	v_mov_b32_e32 v14, v4
	global_store_dwordx2 v[0:1], v[4:5], off
	v_mov_b32_e32 v15, v5
	buffer_wbl2
	s_waitcnt vmcnt(0)
	global_atomic_cmpswap_x2 v[14:15], v3, v[12:15], s[10:11] offset:24 glc
	s_waitcnt vmcnt(0)
	v_cmp_ne_u64_e32 vcc, v[14:15], v[4:5]
	s_and_b64 exec, exec, vcc
	s_cbranch_execz .LBB1_251
.LBB1_250:                              ; =>This Inner Loop Header: Depth=1
	s_sleep 1
	global_store_dwordx2 v[0:1], v[14:15], off
	buffer_wbl2
	s_waitcnt vmcnt(0)
	global_atomic_cmpswap_x2 v[4:5], v3, v[12:15], s[10:11] offset:24 glc
	s_waitcnt vmcnt(0)
	v_cmp_eq_u64_e32 vcc, v[4:5], v[14:15]
	s_or_b64 s[4:5], vcc, s[4:5]
	v_pk_mov_b32 v[14:15], v[4:5], v[4:5] op_sel:[0,1]
	s_andn2_b64 exec, exec, s[4:5]
	s_cbranch_execnz .LBB1_250
.LBB1_251:
	s_or_b64 exec, exec, s[12:13]
.LBB1_252:
	v_readfirstlane_b32 s4, v49
	v_cmp_eq_u32_e64 s[4:5], s4, v49
	v_pk_mov_b32 v[0:1], 0, 0
	s_and_saveexec_b64 s[6:7], s[4:5]
	s_cbranch_execz .LBB1_258
; %bb.253:
	v_mov_b32_e32 v3, 0
	global_load_dwordx2 v[14:15], v3, s[10:11] offset:24 glc
	s_waitcnt vmcnt(0)
	buffer_invl2
	buffer_wbinvl1_vol
	global_load_dwordx2 v[0:1], v3, s[10:11] offset:40
	global_load_dwordx2 v[4:5], v3, s[10:11]
	s_waitcnt vmcnt(1)
	v_and_b32_e32 v0, v0, v14
	v_and_b32_e32 v1, v1, v15
	v_mul_lo_u32 v1, v1, 24
	v_mul_hi_u32 v8, v0, 24
	v_mul_lo_u32 v0, v0, 24
	v_add_u32_e32 v1, v8, v1
	s_waitcnt vmcnt(0)
	v_add_co_u32_e32 v0, vcc, v4, v0
	v_addc_co_u32_e32 v1, vcc, v5, v1, vcc
	global_load_dwordx2 v[12:13], v[0:1], off glc
	s_waitcnt vmcnt(0)
	global_atomic_cmpswap_x2 v[0:1], v3, v[12:15], s[10:11] offset:24 glc
	s_waitcnt vmcnt(0)
	buffer_invl2
	buffer_wbinvl1_vol
	v_cmp_ne_u64_e32 vcc, v[0:1], v[14:15]
	s_and_saveexec_b64 s[12:13], vcc
	s_cbranch_execz .LBB1_257
; %bb.254:
	s_mov_b64 s[14:15], 0
.LBB1_255:                              ; =>This Inner Loop Header: Depth=1
	s_sleep 1
	global_load_dwordx2 v[4:5], v3, s[10:11] offset:40
	global_load_dwordx2 v[8:9], v3, s[10:11]
	v_pk_mov_b32 v[14:15], v[0:1], v[0:1] op_sel:[0,1]
	s_waitcnt vmcnt(1)
	v_and_b32_e32 v0, v4, v14
	s_waitcnt vmcnt(0)
	v_mad_u64_u32 v[0:1], s[16:17], v0, 24, v[8:9]
	v_and_b32_e32 v5, v5, v15
	v_mov_b32_e32 v4, v1
	v_mad_u64_u32 v[4:5], s[16:17], v5, 24, v[4:5]
	v_mov_b32_e32 v1, v4
	global_load_dwordx2 v[12:13], v[0:1], off glc
	s_waitcnt vmcnt(0)
	global_atomic_cmpswap_x2 v[0:1], v3, v[12:15], s[10:11] offset:24 glc
	s_waitcnt vmcnt(0)
	buffer_invl2
	buffer_wbinvl1_vol
	v_cmp_eq_u64_e32 vcc, v[0:1], v[14:15]
	s_or_b64 s[14:15], vcc, s[14:15]
	s_andn2_b64 exec, exec, s[14:15]
	s_cbranch_execnz .LBB1_255
; %bb.256:
	s_or_b64 exec, exec, s[14:15]
.LBB1_257:
	s_or_b64 exec, exec, s[12:13]
.LBB1_258:
	s_or_b64 exec, exec, s[6:7]
	s_waitcnt vmcnt(0)
	v_mov_b32_e32 v13, 0
	global_load_dwordx2 v[4:5], v13, s[10:11] offset:40
	global_load_dwordx4 v[14:17], v13, s[10:11]
	v_readfirstlane_b32 s6, v0
	v_readfirstlane_b32 s7, v1
	s_mov_b64 s[12:13], exec
	s_waitcnt vmcnt(1)
	v_readfirstlane_b32 s14, v4
	v_readfirstlane_b32 s15, v5
	s_and_b64 s[14:15], s[6:7], s[14:15]
	s_mul_i32 s16, s15, 24
	s_mul_hi_u32 s17, s14, 24
	s_mul_i32 s18, s14, 24
	s_add_i32 s16, s17, s16
	v_mov_b32_e32 v0, s16
	s_waitcnt vmcnt(0)
	v_add_co_u32_e32 v4, vcc, s18, v14
	v_addc_co_u32_e32 v5, vcc, v15, v0, vcc
	s_and_saveexec_b64 s[16:17], s[4:5]
	s_cbranch_execz .LBB1_260
; %bb.259:
	v_pk_mov_b32 v[18:19], s[12:13], s[12:13] op_sel:[0,1]
	v_mov_b32_e32 v20, 2
	v_mov_b32_e32 v21, 1
	global_store_dwordx4 v[4:5], v[18:21], off offset:8
.LBB1_260:
	s_or_b64 exec, exec, s[16:17]
	s_lshl_b64 s[12:13], s[14:15], 12
	v_mov_b32_e32 v1, s13
	v_add_co_u32_e32 v0, vcc, s12, v16
	v_addc_co_u32_e32 v1, vcc, v17, v1, vcc
	s_mov_b32 s12, 0
	s_movk_i32 s13, 0xff1f
	v_and_or_b32 v10, v10, s13, 32
	v_add_co_u32_e32 v8, vcc, v0, v48
	s_mov_b32 s13, s12
	v_addc_co_u32_e32 v9, vcc, 0, v1, vcc
	v_mov_b32_e32 v12, v2
	v_readfirstlane_b32 s16, v0
	v_readfirstlane_b32 s17, v1
	s_mov_b32 s14, s12
	s_mov_b32 s15, s12
	v_pk_mov_b32 v[0:1], s[12:13], s[12:13] op_sel:[0,1]
	v_pk_mov_b32 v[2:3], s[14:15], s[14:15] op_sel:[0,1]
	s_nop 0
	global_store_dwordx4 v48, v[10:13], s[16:17]
	global_store_dwordx4 v48, v[0:3], s[16:17] offset:16
	global_store_dwordx4 v48, v[0:3], s[16:17] offset:32
	;; [unrolled: 1-line block ×3, first 2 shown]
	s_and_saveexec_b64 s[12:13], s[4:5]
	s_cbranch_execz .LBB1_268
; %bb.261:
	v_mov_b32_e32 v12, 0
	global_load_dwordx2 v[18:19], v12, s[10:11] offset:32 glc
	global_load_dwordx2 v[0:1], v12, s[10:11] offset:40
	v_mov_b32_e32 v16, s6
	v_mov_b32_e32 v17, s7
	s_waitcnt vmcnt(0)
	v_readfirstlane_b32 s14, v0
	v_readfirstlane_b32 s15, v1
	s_and_b64 s[14:15], s[14:15], s[6:7]
	s_mul_i32 s15, s15, 24
	s_mul_hi_u32 s16, s14, 24
	s_mul_i32 s14, s14, 24
	s_add_i32 s15, s16, s15
	v_mov_b32_e32 v0, s15
	v_add_co_u32_e32 v10, vcc, s14, v14
	v_addc_co_u32_e32 v11, vcc, v15, v0, vcc
	global_store_dwordx2 v[10:11], v[18:19], off
	buffer_wbl2
	s_waitcnt vmcnt(0)
	global_atomic_cmpswap_x2 v[2:3], v12, v[16:19], s[10:11] offset:32 glc
	s_waitcnt vmcnt(0)
	v_cmp_ne_u64_e32 vcc, v[2:3], v[18:19]
	s_and_saveexec_b64 s[14:15], vcc
	s_cbranch_execz .LBB1_264
; %bb.262:
	s_mov_b64 s[16:17], 0
.LBB1_263:                              ; =>This Inner Loop Header: Depth=1
	s_sleep 1
	global_store_dwordx2 v[10:11], v[2:3], off
	v_mov_b32_e32 v0, s6
	v_mov_b32_e32 v1, s7
	buffer_wbl2
	s_waitcnt vmcnt(0)
	global_atomic_cmpswap_x2 v[0:1], v12, v[0:3], s[10:11] offset:32 glc
	s_waitcnt vmcnt(0)
	v_cmp_eq_u64_e32 vcc, v[0:1], v[2:3]
	s_or_b64 s[16:17], vcc, s[16:17]
	v_pk_mov_b32 v[2:3], v[0:1], v[0:1] op_sel:[0,1]
	s_andn2_b64 exec, exec, s[16:17]
	s_cbranch_execnz .LBB1_263
.LBB1_264:
	s_or_b64 exec, exec, s[14:15]
	v_mov_b32_e32 v3, 0
	global_load_dwordx2 v[0:1], v3, s[10:11] offset:16
	s_mov_b64 s[14:15], exec
	v_mbcnt_lo_u32_b32 v2, s14, 0
	v_mbcnt_hi_u32_b32 v2, s15, v2
	v_cmp_eq_u32_e32 vcc, 0, v2
	s_and_saveexec_b64 s[16:17], vcc
	s_cbranch_execz .LBB1_266
; %bb.265:
	s_bcnt1_i32_b64 s14, s[14:15]
	v_mov_b32_e32 v2, s14
	buffer_wbl2
	s_waitcnt vmcnt(0)
	global_atomic_add_x2 v[0:1], v[2:3], off offset:8
.LBB1_266:
	s_or_b64 exec, exec, s[16:17]
	s_waitcnt vmcnt(0)
	global_load_dwordx2 v[2:3], v[0:1], off offset:16
	s_waitcnt vmcnt(0)
	v_cmp_eq_u64_e32 vcc, 0, v[2:3]
	s_cbranch_vccnz .LBB1_268
; %bb.267:
	global_load_dword v0, v[0:1], off offset:24
	v_mov_b32_e32 v1, 0
	buffer_wbl2
	s_waitcnt vmcnt(0)
	global_store_dwordx2 v[2:3], v[0:1], off
	v_and_b32_e32 v0, 0xffffff, v0
	v_readfirstlane_b32 m0, v0
	s_sendmsg sendmsg(MSG_INTERRUPT)
.LBB1_268:
	s_or_b64 exec, exec, s[12:13]
	s_branch .LBB1_272
.LBB1_269:                              ;   in Loop: Header=BB1_272 Depth=1
	s_or_b64 exec, exec, s[12:13]
	v_readfirstlane_b32 s12, v0
	s_cmp_eq_u32 s12, 0
	s_cbranch_scc1 .LBB1_271
; %bb.270:                              ;   in Loop: Header=BB1_272 Depth=1
	s_sleep 1
	s_cbranch_execnz .LBB1_272
	s_branch .LBB1_274
.LBB1_271:
	s_branch .LBB1_274
.LBB1_272:                              ; =>This Inner Loop Header: Depth=1
	v_mov_b32_e32 v0, 1
	s_and_saveexec_b64 s[12:13], s[4:5]
	s_cbranch_execz .LBB1_269
; %bb.273:                              ;   in Loop: Header=BB1_272 Depth=1
	global_load_dword v0, v[4:5], off offset:20 glc
	s_waitcnt vmcnt(0)
	buffer_invl2
	buffer_wbinvl1_vol
	v_and_b32_e32 v0, 1, v0
	s_branch .LBB1_269
.LBB1_274:
	global_load_dwordx2 v[0:1], v[8:9], off
	s_and_saveexec_b64 s[12:13], s[4:5]
	s_cbranch_execz .LBB1_277
; %bb.275:
	v_mov_b32_e32 v10, 0
	global_load_dwordx2 v[8:9], v10, s[10:11] offset:40
	global_load_dwordx2 v[12:13], v10, s[10:11] offset:24 glc
	global_load_dwordx2 v[14:15], v10, s[10:11]
	v_mov_b32_e32 v3, s7
	s_mov_b64 s[4:5], 0
	s_waitcnt vmcnt(2)
	v_add_co_u32_e32 v5, vcc, 1, v8
	v_addc_co_u32_e32 v11, vcc, 0, v9, vcc
	v_add_co_u32_e32 v2, vcc, s6, v5
	v_addc_co_u32_e32 v3, vcc, v11, v3, vcc
	v_cmp_eq_u64_e32 vcc, 0, v[2:3]
	v_cndmask_b32_e32 v3, v3, v11, vcc
	v_cndmask_b32_e32 v2, v2, v5, vcc
	v_and_b32_e32 v5, v3, v9
	v_and_b32_e32 v8, v2, v8
	v_mul_lo_u32 v5, v5, 24
	v_mul_hi_u32 v9, v8, 24
	v_mul_lo_u32 v8, v8, 24
	v_add_u32_e32 v5, v9, v5
	s_waitcnt vmcnt(0)
	v_add_co_u32_e32 v8, vcc, v14, v8
	v_addc_co_u32_e32 v9, vcc, v15, v5, vcc
	v_mov_b32_e32 v4, v12
	global_store_dwordx2 v[8:9], v[12:13], off
	v_mov_b32_e32 v5, v13
	buffer_wbl2
	s_waitcnt vmcnt(0)
	global_atomic_cmpswap_x2 v[4:5], v10, v[2:5], s[10:11] offset:24 glc
	s_waitcnt vmcnt(0)
	v_cmp_ne_u64_e32 vcc, v[4:5], v[12:13]
	s_and_b64 exec, exec, vcc
	s_cbranch_execz .LBB1_277
.LBB1_276:                              ; =>This Inner Loop Header: Depth=1
	s_sleep 1
	global_store_dwordx2 v[8:9], v[4:5], off
	buffer_wbl2
	s_waitcnt vmcnt(0)
	global_atomic_cmpswap_x2 v[12:13], v10, v[2:5], s[10:11] offset:24 glc
	s_waitcnt vmcnt(0)
	v_cmp_eq_u64_e32 vcc, v[12:13], v[4:5]
	s_or_b64 s[4:5], vcc, s[4:5]
	v_pk_mov_b32 v[4:5], v[12:13], v[12:13] op_sel:[0,1]
	s_andn2_b64 exec, exec, s[4:5]
	s_cbranch_execnz .LBB1_276
.LBB1_277:
	s_or_b64 exec, exec, s[12:13]
	s_mov_b64 s[4:5], 0
	v_pk_mov_b32 v[4:5], v[36:37], v[36:37] op_sel:[0,1]
.LBB1_278:                              ; =>This Inner Loop Header: Depth=1
	flat_load_ubyte v8, v[4:5]
	v_add_co_u32_e32 v2, vcc, 1, v4
	v_addc_co_u32_e32 v3, vcc, 0, v5, vcc
	v_pk_mov_b32 v[4:5], v[2:3], v[2:3] op_sel:[0,1]
	s_waitcnt vmcnt(0) lgkmcnt(0)
	v_cmp_eq_u16_e32 vcc, 0, v8
	s_or_b64 s[4:5], vcc, s[4:5]
	s_andn2_b64 exec, exec, s[4:5]
	s_cbranch_execnz .LBB1_278
; %bb.279:
	s_or_b64 exec, exec, s[4:5]
	s_mov_b64 s[6:7], 0
	v_cmp_ne_u64_e32 vcc, 0, v[36:37]
	s_and_saveexec_b64 s[4:5], vcc
	s_xor_b64 s[12:13], exec, s[4:5]
	s_cbranch_execz .LBB1_365
; %bb.280:
	v_sub_u32_e32 v28, v2, v36
	v_ashrrev_i32_e32 v29, 31, v28
	v_and_b32_e32 v30, 2, v0
	v_mov_b32_e32 v33, 0
	v_and_b32_e32 v0, -3, v0
	s_mov_b32 s22, 0
	s_movk_i32 s23, 0xff1f
	v_mov_b32_e32 v4, 2
	v_mov_b32_e32 v5, 1
	s_branch .LBB1_282
.LBB1_281:                              ;   in Loop: Header=BB1_282 Depth=1
	s_or_b64 exec, exec, s[16:17]
	v_sub_co_u32_e32 v28, vcc, v28, v34
	v_subb_co_u32_e32 v29, vcc, v29, v35, vcc
	v_cmp_eq_u64_e32 vcc, 0, v[28:29]
	s_or_b64 s[6:7], vcc, s[6:7]
	v_add_co_u32_e32 v36, vcc, v36, v34
	v_addc_co_u32_e32 v37, vcc, v37, v35, vcc
	s_andn2_b64 exec, exec, s[6:7]
	s_cbranch_execz .LBB1_364
.LBB1_282:                              ; =>This Loop Header: Depth=1
                                        ;     Child Loop BB1_285 Depth 2
                                        ;     Child Loop BB1_293 Depth 2
                                        ;     Child Loop BB1_301 Depth 2
                                        ;     Child Loop BB1_309 Depth 2
                                        ;     Child Loop BB1_317 Depth 2
                                        ;     Child Loop BB1_325 Depth 2
                                        ;     Child Loop BB1_333 Depth 2
                                        ;     Child Loop BB1_341 Depth 2
                                        ;     Child Loop BB1_349 Depth 2
                                        ;     Child Loop BB1_358 Depth 2
                                        ;     Child Loop BB1_363 Depth 2
	v_cmp_gt_u64_e32 vcc, 56, v[28:29]
	v_cndmask_b32_e32 v35, 0, v29, vcc
	v_cndmask_b32_e32 v34, 56, v28, vcc
	v_cmp_gt_u64_e32 vcc, 8, v[28:29]
                                        ; implicit-def: $vgpr10_vgpr11
                                        ; implicit-def: $sgpr14
	s_and_saveexec_b64 s[4:5], vcc
	s_xor_b64 s[4:5], exec, s[4:5]
	s_cbranch_execz .LBB1_288
; %bb.283:                              ;   in Loop: Header=BB1_282 Depth=1
	s_mov_b64 s[16:17], 0
	v_cmp_ne_u64_e32 vcc, 0, v[28:29]
	v_pk_mov_b32 v[10:11], 0, 0
	s_and_saveexec_b64 s[14:15], vcc
	s_cbranch_execz .LBB1_287
; %bb.284:                              ;   in Loop: Header=BB1_282 Depth=1
	s_waitcnt vmcnt(0)
	v_lshlrev_b64 v[2:3], 3, v[34:35]
	v_pk_mov_b32 v[10:11], 0, 0
	v_pk_mov_b32 v[8:9], v[36:37], v[36:37] op_sel:[0,1]
	s_mov_b64 s[18:19], 0
.LBB1_285:                              ;   Parent Loop BB1_282 Depth=1
                                        ; =>  This Inner Loop Header: Depth=2
	flat_load_ubyte v3, v[8:9]
	v_mov_b32_e32 v13, s22
	v_add_co_u32_e32 v8, vcc, 1, v8
	v_addc_co_u32_e32 v9, vcc, 0, v9, vcc
	s_waitcnt vmcnt(0) lgkmcnt(0)
	v_and_b32_e32 v12, 0xffff, v3
	v_lshlrev_b64 v[12:13], s18, v[12:13]
	s_add_u32 s18, s18, 8
	s_addc_u32 s19, s19, 0
	v_cmp_eq_u32_e32 vcc, s18, v2
	v_or_b32_e32 v11, v13, v11
	s_or_b64 s[16:17], vcc, s[16:17]
	v_or_b32_e32 v10, v12, v10
	s_andn2_b64 exec, exec, s[16:17]
	s_cbranch_execnz .LBB1_285
; %bb.286:                              ;   in Loop: Header=BB1_282 Depth=1
	s_or_b64 exec, exec, s[16:17]
.LBB1_287:                              ;   in Loop: Header=BB1_282 Depth=1
	s_or_b64 exec, exec, s[14:15]
	s_mov_b32 s14, 0
.LBB1_288:                              ;   in Loop: Header=BB1_282 Depth=1
	s_or_saveexec_b64 s[4:5], s[4:5]
	v_mov_b32_e32 v8, s14
	s_waitcnt vmcnt(0)
	v_pk_mov_b32 v[2:3], v[36:37], v[36:37] op_sel:[0,1]
	s_xor_b64 exec, exec, s[4:5]
	s_cbranch_execz .LBB1_290
; %bb.289:                              ;   in Loop: Header=BB1_282 Depth=1
	flat_load_dwordx2 v[2:3], v[36:37]
	v_add_u32_e32 v8, -8, v34
	s_waitcnt vmcnt(0) lgkmcnt(0)
	v_and_b32_e32 v9, 0xff, v3
	v_and_b32_e32 v11, 0xff00, v3
	;; [unrolled: 1-line block ×4, first 2 shown]
	v_or3_b32 v10, v2, 0, 0
	v_or_b32_e32 v2, v9, v11
	v_or3_b32 v11, v2, v12, v3
	v_add_co_u32_e32 v2, vcc, 8, v36
	v_addc_co_u32_e32 v3, vcc, 0, v37, vcc
.LBB1_290:                              ;   in Loop: Header=BB1_282 Depth=1
	s_or_b64 exec, exec, s[4:5]
	v_cmp_gt_u32_e32 vcc, 8, v8
                                        ; implicit-def: $vgpr12_vgpr13
                                        ; implicit-def: $sgpr14
	s_and_saveexec_b64 s[4:5], vcc
	s_xor_b64 s[4:5], exec, s[4:5]
	s_cbranch_execz .LBB1_296
; %bb.291:                              ;   in Loop: Header=BB1_282 Depth=1
	v_cmp_ne_u32_e32 vcc, 0, v8
	v_pk_mov_b32 v[12:13], 0, 0
	s_and_saveexec_b64 s[14:15], vcc
	s_cbranch_execz .LBB1_295
; %bb.292:                              ;   in Loop: Header=BB1_282 Depth=1
	s_mov_b64 s[16:17], 0
	v_pk_mov_b32 v[12:13], 0, 0
	s_mov_b64 s[18:19], 0
	s_mov_b64 s[20:21], 0
.LBB1_293:                              ;   Parent Loop BB1_282 Depth=1
                                        ; =>  This Inner Loop Header: Depth=2
	v_mov_b32_e32 v9, s21
	v_add_co_u32_e32 v14, vcc, s20, v2
	v_addc_co_u32_e32 v15, vcc, v3, v9, vcc
	flat_load_ubyte v9, v[14:15]
	s_add_u32 s20, s20, 1
	v_mov_b32_e32 v15, s22
	s_addc_u32 s21, s21, 0
	v_cmp_eq_u32_e32 vcc, s20, v8
	s_waitcnt vmcnt(0) lgkmcnt(0)
	v_and_b32_e32 v14, 0xffff, v9
	v_lshlrev_b64 v[14:15], s18, v[14:15]
	s_add_u32 s18, s18, 8
	s_addc_u32 s19, s19, 0
	v_or_b32_e32 v13, v15, v13
	s_or_b64 s[16:17], vcc, s[16:17]
	v_or_b32_e32 v12, v14, v12
	s_andn2_b64 exec, exec, s[16:17]
	s_cbranch_execnz .LBB1_293
; %bb.294:                              ;   in Loop: Header=BB1_282 Depth=1
	s_or_b64 exec, exec, s[16:17]
.LBB1_295:                              ;   in Loop: Header=BB1_282 Depth=1
	s_or_b64 exec, exec, s[14:15]
	s_mov_b32 s14, 0
                                        ; implicit-def: $vgpr8
.LBB1_296:                              ;   in Loop: Header=BB1_282 Depth=1
	s_or_saveexec_b64 s[4:5], s[4:5]
	v_mov_b32_e32 v9, s14
	s_xor_b64 exec, exec, s[4:5]
	s_cbranch_execz .LBB1_298
; %bb.297:                              ;   in Loop: Header=BB1_282 Depth=1
	flat_load_dwordx2 v[12:13], v[2:3]
	v_add_u32_e32 v9, -8, v8
	v_add_co_u32_e32 v2, vcc, 8, v2
	v_addc_co_u32_e32 v3, vcc, 0, v3, vcc
	s_waitcnt vmcnt(0) lgkmcnt(0)
	v_and_b32_e32 v8, 0xff, v13
	v_and_b32_e32 v14, 0xff00, v13
	;; [unrolled: 1-line block ×4, first 2 shown]
	v_or_b32_e32 v8, v8, v14
	v_or3_b32 v12, v12, 0, 0
	v_or3_b32 v13, v8, v15, v13
.LBB1_298:                              ;   in Loop: Header=BB1_282 Depth=1
	s_or_b64 exec, exec, s[4:5]
	v_cmp_gt_u32_e32 vcc, 8, v9
                                        ; implicit-def: $sgpr14
	s_and_saveexec_b64 s[4:5], vcc
	s_xor_b64 s[4:5], exec, s[4:5]
	s_cbranch_execz .LBB1_304
; %bb.299:                              ;   in Loop: Header=BB1_282 Depth=1
	v_cmp_ne_u32_e32 vcc, 0, v9
	v_pk_mov_b32 v[14:15], 0, 0
	s_and_saveexec_b64 s[14:15], vcc
	s_cbranch_execz .LBB1_303
; %bb.300:                              ;   in Loop: Header=BB1_282 Depth=1
	s_mov_b64 s[16:17], 0
	v_pk_mov_b32 v[14:15], 0, 0
	s_mov_b64 s[18:19], 0
	s_mov_b64 s[20:21], 0
.LBB1_301:                              ;   Parent Loop BB1_282 Depth=1
                                        ; =>  This Inner Loop Header: Depth=2
	v_mov_b32_e32 v8, s21
	v_add_co_u32_e32 v16, vcc, s20, v2
	v_addc_co_u32_e32 v17, vcc, v3, v8, vcc
	flat_load_ubyte v8, v[16:17]
	s_add_u32 s20, s20, 1
	v_mov_b32_e32 v17, s22
	s_addc_u32 s21, s21, 0
	v_cmp_eq_u32_e32 vcc, s20, v9
	s_waitcnt vmcnt(0) lgkmcnt(0)
	v_and_b32_e32 v16, 0xffff, v8
	v_lshlrev_b64 v[16:17], s18, v[16:17]
	s_add_u32 s18, s18, 8
	s_addc_u32 s19, s19, 0
	v_or_b32_e32 v15, v17, v15
	s_or_b64 s[16:17], vcc, s[16:17]
	v_or_b32_e32 v14, v16, v14
	s_andn2_b64 exec, exec, s[16:17]
	s_cbranch_execnz .LBB1_301
; %bb.302:                              ;   in Loop: Header=BB1_282 Depth=1
	s_or_b64 exec, exec, s[16:17]
.LBB1_303:                              ;   in Loop: Header=BB1_282 Depth=1
	s_or_b64 exec, exec, s[14:15]
	s_mov_b32 s14, 0
                                        ; implicit-def: $vgpr9
.LBB1_304:                              ;   in Loop: Header=BB1_282 Depth=1
	s_or_saveexec_b64 s[4:5], s[4:5]
	v_mov_b32_e32 v8, s14
	s_xor_b64 exec, exec, s[4:5]
	s_cbranch_execz .LBB1_306
; %bb.305:                              ;   in Loop: Header=BB1_282 Depth=1
	flat_load_dwordx2 v[14:15], v[2:3]
	v_add_u32_e32 v8, -8, v9
	v_add_co_u32_e32 v2, vcc, 8, v2
	v_addc_co_u32_e32 v3, vcc, 0, v3, vcc
	s_waitcnt vmcnt(0) lgkmcnt(0)
	v_and_b32_e32 v9, 0xff, v15
	v_and_b32_e32 v16, 0xff00, v15
	;; [unrolled: 1-line block ×4, first 2 shown]
	v_or_b32_e32 v9, v9, v16
	v_or3_b32 v14, v14, 0, 0
	v_or3_b32 v15, v9, v17, v15
.LBB1_306:                              ;   in Loop: Header=BB1_282 Depth=1
	s_or_b64 exec, exec, s[4:5]
	v_cmp_gt_u32_e32 vcc, 8, v8
                                        ; implicit-def: $vgpr16_vgpr17
                                        ; implicit-def: $sgpr14
	s_and_saveexec_b64 s[4:5], vcc
	s_xor_b64 s[4:5], exec, s[4:5]
	s_cbranch_execz .LBB1_312
; %bb.307:                              ;   in Loop: Header=BB1_282 Depth=1
	v_cmp_ne_u32_e32 vcc, 0, v8
	v_pk_mov_b32 v[16:17], 0, 0
	s_and_saveexec_b64 s[14:15], vcc
	s_cbranch_execz .LBB1_311
; %bb.308:                              ;   in Loop: Header=BB1_282 Depth=1
	s_mov_b64 s[16:17], 0
	v_pk_mov_b32 v[16:17], 0, 0
	s_mov_b64 s[18:19], 0
	s_mov_b64 s[20:21], 0
.LBB1_309:                              ;   Parent Loop BB1_282 Depth=1
                                        ; =>  This Inner Loop Header: Depth=2
	v_mov_b32_e32 v9, s21
	v_add_co_u32_e32 v18, vcc, s20, v2
	v_addc_co_u32_e32 v19, vcc, v3, v9, vcc
	flat_load_ubyte v9, v[18:19]
	s_add_u32 s20, s20, 1
	v_mov_b32_e32 v19, s22
	s_addc_u32 s21, s21, 0
	v_cmp_eq_u32_e32 vcc, s20, v8
	s_waitcnt vmcnt(0) lgkmcnt(0)
	v_and_b32_e32 v18, 0xffff, v9
	v_lshlrev_b64 v[18:19], s18, v[18:19]
	s_add_u32 s18, s18, 8
	s_addc_u32 s19, s19, 0
	v_or_b32_e32 v17, v19, v17
	s_or_b64 s[16:17], vcc, s[16:17]
	v_or_b32_e32 v16, v18, v16
	s_andn2_b64 exec, exec, s[16:17]
	s_cbranch_execnz .LBB1_309
; %bb.310:                              ;   in Loop: Header=BB1_282 Depth=1
	s_or_b64 exec, exec, s[16:17]
.LBB1_311:                              ;   in Loop: Header=BB1_282 Depth=1
	s_or_b64 exec, exec, s[14:15]
	s_mov_b32 s14, 0
                                        ; implicit-def: $vgpr8
.LBB1_312:                              ;   in Loop: Header=BB1_282 Depth=1
	s_or_saveexec_b64 s[4:5], s[4:5]
	v_mov_b32_e32 v9, s14
	s_xor_b64 exec, exec, s[4:5]
	s_cbranch_execz .LBB1_314
; %bb.313:                              ;   in Loop: Header=BB1_282 Depth=1
	flat_load_dwordx2 v[16:17], v[2:3]
	v_add_u32_e32 v9, -8, v8
	v_add_co_u32_e32 v2, vcc, 8, v2
	v_addc_co_u32_e32 v3, vcc, 0, v3, vcc
	s_waitcnt vmcnt(0) lgkmcnt(0)
	v_and_b32_e32 v8, 0xff, v17
	v_and_b32_e32 v18, 0xff00, v17
	;; [unrolled: 1-line block ×4, first 2 shown]
	v_or_b32_e32 v8, v8, v18
	v_or3_b32 v16, v16, 0, 0
	v_or3_b32 v17, v8, v19, v17
.LBB1_314:                              ;   in Loop: Header=BB1_282 Depth=1
	s_or_b64 exec, exec, s[4:5]
	v_cmp_gt_u32_e32 vcc, 8, v9
                                        ; implicit-def: $sgpr14
	s_and_saveexec_b64 s[4:5], vcc
	s_xor_b64 s[4:5], exec, s[4:5]
	s_cbranch_execz .LBB1_320
; %bb.315:                              ;   in Loop: Header=BB1_282 Depth=1
	v_cmp_ne_u32_e32 vcc, 0, v9
	v_pk_mov_b32 v[18:19], 0, 0
	s_and_saveexec_b64 s[14:15], vcc
	s_cbranch_execz .LBB1_319
; %bb.316:                              ;   in Loop: Header=BB1_282 Depth=1
	s_mov_b64 s[16:17], 0
	v_pk_mov_b32 v[18:19], 0, 0
	s_mov_b64 s[18:19], 0
	s_mov_b64 s[20:21], 0
.LBB1_317:                              ;   Parent Loop BB1_282 Depth=1
                                        ; =>  This Inner Loop Header: Depth=2
	v_mov_b32_e32 v8, s21
	v_add_co_u32_e32 v20, vcc, s20, v2
	v_addc_co_u32_e32 v21, vcc, v3, v8, vcc
	flat_load_ubyte v8, v[20:21]
	s_add_u32 s20, s20, 1
	v_mov_b32_e32 v21, s22
	s_addc_u32 s21, s21, 0
	v_cmp_eq_u32_e32 vcc, s20, v9
	s_waitcnt vmcnt(0) lgkmcnt(0)
	v_and_b32_e32 v20, 0xffff, v8
	v_lshlrev_b64 v[20:21], s18, v[20:21]
	s_add_u32 s18, s18, 8
	s_addc_u32 s19, s19, 0
	v_or_b32_e32 v19, v21, v19
	s_or_b64 s[16:17], vcc, s[16:17]
	v_or_b32_e32 v18, v20, v18
	s_andn2_b64 exec, exec, s[16:17]
	s_cbranch_execnz .LBB1_317
; %bb.318:                              ;   in Loop: Header=BB1_282 Depth=1
	s_or_b64 exec, exec, s[16:17]
.LBB1_319:                              ;   in Loop: Header=BB1_282 Depth=1
	s_or_b64 exec, exec, s[14:15]
	s_mov_b32 s14, 0
                                        ; implicit-def: $vgpr9
.LBB1_320:                              ;   in Loop: Header=BB1_282 Depth=1
	s_or_saveexec_b64 s[4:5], s[4:5]
	v_mov_b32_e32 v8, s14
	s_xor_b64 exec, exec, s[4:5]
	s_cbranch_execz .LBB1_322
; %bb.321:                              ;   in Loop: Header=BB1_282 Depth=1
	flat_load_dwordx2 v[18:19], v[2:3]
	v_add_u32_e32 v8, -8, v9
	v_add_co_u32_e32 v2, vcc, 8, v2
	v_addc_co_u32_e32 v3, vcc, 0, v3, vcc
	s_waitcnt vmcnt(0) lgkmcnt(0)
	v_and_b32_e32 v9, 0xff, v19
	v_and_b32_e32 v20, 0xff00, v19
	;; [unrolled: 1-line block ×4, first 2 shown]
	v_or_b32_e32 v9, v9, v20
	v_or3_b32 v18, v18, 0, 0
	v_or3_b32 v19, v9, v21, v19
.LBB1_322:                              ;   in Loop: Header=BB1_282 Depth=1
	s_or_b64 exec, exec, s[4:5]
	v_cmp_gt_u32_e32 vcc, 8, v8
                                        ; implicit-def: $vgpr20_vgpr21
                                        ; implicit-def: $sgpr14
	s_and_saveexec_b64 s[4:5], vcc
	s_xor_b64 s[4:5], exec, s[4:5]
	s_cbranch_execz .LBB1_328
; %bb.323:                              ;   in Loop: Header=BB1_282 Depth=1
	v_cmp_ne_u32_e32 vcc, 0, v8
	v_pk_mov_b32 v[20:21], 0, 0
	s_and_saveexec_b64 s[14:15], vcc
	s_cbranch_execz .LBB1_327
; %bb.324:                              ;   in Loop: Header=BB1_282 Depth=1
	s_mov_b64 s[16:17], 0
	v_pk_mov_b32 v[20:21], 0, 0
	s_mov_b64 s[18:19], 0
	s_mov_b64 s[20:21], 0
.LBB1_325:                              ;   Parent Loop BB1_282 Depth=1
                                        ; =>  This Inner Loop Header: Depth=2
	v_mov_b32_e32 v9, s21
	v_add_co_u32_e32 v22, vcc, s20, v2
	v_addc_co_u32_e32 v23, vcc, v3, v9, vcc
	flat_load_ubyte v9, v[22:23]
	s_add_u32 s20, s20, 1
	v_mov_b32_e32 v23, s22
	s_addc_u32 s21, s21, 0
	v_cmp_eq_u32_e32 vcc, s20, v8
	s_waitcnt vmcnt(0) lgkmcnt(0)
	v_and_b32_e32 v22, 0xffff, v9
	v_lshlrev_b64 v[22:23], s18, v[22:23]
	s_add_u32 s18, s18, 8
	s_addc_u32 s19, s19, 0
	v_or_b32_e32 v21, v23, v21
	s_or_b64 s[16:17], vcc, s[16:17]
	v_or_b32_e32 v20, v22, v20
	s_andn2_b64 exec, exec, s[16:17]
	s_cbranch_execnz .LBB1_325
; %bb.326:                              ;   in Loop: Header=BB1_282 Depth=1
	s_or_b64 exec, exec, s[16:17]
.LBB1_327:                              ;   in Loop: Header=BB1_282 Depth=1
	s_or_b64 exec, exec, s[14:15]
	s_mov_b32 s14, 0
                                        ; implicit-def: $vgpr8
.LBB1_328:                              ;   in Loop: Header=BB1_282 Depth=1
	s_or_saveexec_b64 s[4:5], s[4:5]
	v_mov_b32_e32 v9, s14
	s_xor_b64 exec, exec, s[4:5]
	s_cbranch_execz .LBB1_330
; %bb.329:                              ;   in Loop: Header=BB1_282 Depth=1
	flat_load_dwordx2 v[20:21], v[2:3]
	v_add_u32_e32 v9, -8, v8
	v_add_co_u32_e32 v2, vcc, 8, v2
	v_addc_co_u32_e32 v3, vcc, 0, v3, vcc
	s_waitcnt vmcnt(0) lgkmcnt(0)
	v_and_b32_e32 v8, 0xff, v21
	v_and_b32_e32 v22, 0xff00, v21
	;; [unrolled: 1-line block ×4, first 2 shown]
	v_or_b32_e32 v8, v8, v22
	v_or3_b32 v20, v20, 0, 0
	v_or3_b32 v21, v8, v23, v21
.LBB1_330:                              ;   in Loop: Header=BB1_282 Depth=1
	s_or_b64 exec, exec, s[4:5]
	v_cmp_gt_u32_e32 vcc, 8, v9
	s_and_saveexec_b64 s[4:5], vcc
	s_xor_b64 s[4:5], exec, s[4:5]
	s_cbranch_execz .LBB1_336
; %bb.331:                              ;   in Loop: Header=BB1_282 Depth=1
	v_cmp_ne_u32_e32 vcc, 0, v9
	v_pk_mov_b32 v[22:23], 0, 0
	s_and_saveexec_b64 s[14:15], vcc
	s_cbranch_execz .LBB1_335
; %bb.332:                              ;   in Loop: Header=BB1_282 Depth=1
	s_mov_b64 s[16:17], 0
	v_pk_mov_b32 v[22:23], 0, 0
	s_mov_b64 s[18:19], 0
.LBB1_333:                              ;   Parent Loop BB1_282 Depth=1
                                        ; =>  This Inner Loop Header: Depth=2
	flat_load_ubyte v8, v[2:3]
	v_mov_b32_e32 v25, s22
	v_add_co_u32_e32 v2, vcc, 1, v2
	v_add_u32_e32 v9, -1, v9
	v_addc_co_u32_e32 v3, vcc, 0, v3, vcc
	v_cmp_eq_u32_e32 vcc, 0, v9
	s_waitcnt vmcnt(0) lgkmcnt(0)
	v_and_b32_e32 v24, 0xffff, v8
	v_lshlrev_b64 v[24:25], s18, v[24:25]
	s_add_u32 s18, s18, 8
	s_addc_u32 s19, s19, 0
	v_or_b32_e32 v23, v25, v23
	s_or_b64 s[16:17], vcc, s[16:17]
	v_or_b32_e32 v22, v24, v22
	s_andn2_b64 exec, exec, s[16:17]
	s_cbranch_execnz .LBB1_333
; %bb.334:                              ;   in Loop: Header=BB1_282 Depth=1
	s_or_b64 exec, exec, s[16:17]
.LBB1_335:                              ;   in Loop: Header=BB1_282 Depth=1
	s_or_b64 exec, exec, s[14:15]
                                        ; implicit-def: $vgpr2_vgpr3
.LBB1_336:                              ;   in Loop: Header=BB1_282 Depth=1
	s_andn2_saveexec_b64 s[4:5], s[4:5]
	s_cbranch_execz .LBB1_338
; %bb.337:                              ;   in Loop: Header=BB1_282 Depth=1
	flat_load_dwordx2 v[2:3], v[2:3]
	s_waitcnt vmcnt(0) lgkmcnt(0)
	v_and_b32_e32 v8, 0xff, v3
	v_and_b32_e32 v9, 0xff00, v3
	;; [unrolled: 1-line block ×4, first 2 shown]
	v_or_b32_e32 v8, v8, v9
	v_or3_b32 v23, v8, v22, v3
	v_or3_b32 v22, v2, 0, 0
.LBB1_338:                              ;   in Loop: Header=BB1_282 Depth=1
	s_or_b64 exec, exec, s[4:5]
	v_readfirstlane_b32 s4, v49
	v_cmp_eq_u32_e64 s[4:5], s4, v49
	v_pk_mov_b32 v[2:3], 0, 0
	s_and_saveexec_b64 s[14:15], s[4:5]
	s_cbranch_execz .LBB1_344
; %bb.339:                              ;   in Loop: Header=BB1_282 Depth=1
	global_load_dwordx2 v[26:27], v33, s[10:11] offset:24 glc
	s_waitcnt vmcnt(0)
	buffer_invl2
	buffer_wbinvl1_vol
	global_load_dwordx2 v[2:3], v33, s[10:11] offset:40
	global_load_dwordx2 v[8:9], v33, s[10:11]
	s_waitcnt vmcnt(1)
	v_and_b32_e32 v2, v2, v26
	v_and_b32_e32 v3, v3, v27
	v_mul_lo_u32 v3, v3, 24
	v_mul_hi_u32 v24, v2, 24
	v_mul_lo_u32 v2, v2, 24
	v_add_u32_e32 v3, v24, v3
	s_waitcnt vmcnt(0)
	v_add_co_u32_e32 v2, vcc, v8, v2
	v_addc_co_u32_e32 v3, vcc, v9, v3, vcc
	global_load_dwordx2 v[24:25], v[2:3], off glc
	s_waitcnt vmcnt(0)
	global_atomic_cmpswap_x2 v[2:3], v33, v[24:27], s[10:11] offset:24 glc
	s_waitcnt vmcnt(0)
	buffer_invl2
	buffer_wbinvl1_vol
	v_cmp_ne_u64_e32 vcc, v[2:3], v[26:27]
	s_and_saveexec_b64 s[16:17], vcc
	s_cbranch_execz .LBB1_343
; %bb.340:                              ;   in Loop: Header=BB1_282 Depth=1
	s_mov_b64 s[18:19], 0
.LBB1_341:                              ;   Parent Loop BB1_282 Depth=1
                                        ; =>  This Inner Loop Header: Depth=2
	s_sleep 1
	global_load_dwordx2 v[8:9], v33, s[10:11] offset:40
	global_load_dwordx2 v[24:25], v33, s[10:11]
	v_pk_mov_b32 v[26:27], v[2:3], v[2:3] op_sel:[0,1]
	s_waitcnt vmcnt(1)
	v_and_b32_e32 v2, v8, v26
	s_waitcnt vmcnt(0)
	v_mad_u64_u32 v[2:3], s[20:21], v2, 24, v[24:25]
	v_and_b32_e32 v9, v9, v27
	v_mov_b32_e32 v8, v3
	v_mad_u64_u32 v[8:9], s[20:21], v9, 24, v[8:9]
	v_mov_b32_e32 v3, v8
	global_load_dwordx2 v[24:25], v[2:3], off glc
	s_waitcnt vmcnt(0)
	global_atomic_cmpswap_x2 v[2:3], v33, v[24:27], s[10:11] offset:24 glc
	s_waitcnt vmcnt(0)
	buffer_invl2
	buffer_wbinvl1_vol
	v_cmp_eq_u64_e32 vcc, v[2:3], v[26:27]
	s_or_b64 s[18:19], vcc, s[18:19]
	s_andn2_b64 exec, exec, s[18:19]
	s_cbranch_execnz .LBB1_341
; %bb.342:                              ;   in Loop: Header=BB1_282 Depth=1
	s_or_b64 exec, exec, s[18:19]
.LBB1_343:                              ;   in Loop: Header=BB1_282 Depth=1
	s_or_b64 exec, exec, s[16:17]
.LBB1_344:                              ;   in Loop: Header=BB1_282 Depth=1
	s_or_b64 exec, exec, s[14:15]
	global_load_dwordx2 v[8:9], v33, s[10:11] offset:40
	global_load_dwordx4 v[24:27], v33, s[10:11]
	v_readfirstlane_b32 s14, v2
	v_readfirstlane_b32 s15, v3
	s_mov_b64 s[16:17], exec
	s_waitcnt vmcnt(1)
	v_readfirstlane_b32 s18, v8
	v_readfirstlane_b32 s19, v9
	s_and_b64 s[18:19], s[14:15], s[18:19]
	s_mul_i32 s20, s19, 24
	s_mul_hi_u32 s21, s18, 24
	s_mul_i32 s24, s18, 24
	s_add_i32 s20, s21, s20
	v_mov_b32_e32 v2, s20
	s_waitcnt vmcnt(0)
	v_add_co_u32_e32 v38, vcc, s24, v24
	v_addc_co_u32_e32 v39, vcc, v25, v2, vcc
	s_and_saveexec_b64 s[20:21], s[4:5]
	s_cbranch_execz .LBB1_346
; %bb.345:                              ;   in Loop: Header=BB1_282 Depth=1
	v_pk_mov_b32 v[2:3], s[16:17], s[16:17] op_sel:[0,1]
	global_store_dwordx4 v[38:39], v[2:5], off offset:8
.LBB1_346:                              ;   in Loop: Header=BB1_282 Depth=1
	s_or_b64 exec, exec, s[20:21]
	s_lshl_b64 s[16:17], s[18:19], 12
	v_mov_b32_e32 v2, s17
	v_add_co_u32_e32 v26, vcc, s16, v26
	v_addc_co_u32_e32 v27, vcc, v27, v2, vcc
	v_or_b32_e32 v2, 0, v1
	v_cmp_lt_u64_e32 vcc, 56, v[28:29]
	v_or_b32_e32 v3, v0, v30
	v_cndmask_b32_e32 v9, v2, v1, vcc
	v_lshl_add_u32 v1, v34, 2, 28
	v_cndmask_b32_e32 v0, v3, v0, vcc
	v_and_b32_e32 v1, 0x1e0, v1
	v_and_or_b32 v8, v0, s23, v1
	v_readfirstlane_b32 s16, v26
	v_readfirstlane_b32 s17, v27
	s_nop 4
	global_store_dwordx4 v48, v[8:11], s[16:17]
	global_store_dwordx4 v48, v[12:15], s[16:17] offset:16
	global_store_dwordx4 v48, v[16:19], s[16:17] offset:32
	;; [unrolled: 1-line block ×3, first 2 shown]
	s_and_saveexec_b64 s[16:17], s[4:5]
	s_cbranch_execz .LBB1_354
; %bb.347:                              ;   in Loop: Header=BB1_282 Depth=1
	global_load_dwordx2 v[12:13], v33, s[10:11] offset:32 glc
	global_load_dwordx2 v[0:1], v33, s[10:11] offset:40
	v_mov_b32_e32 v10, s14
	v_mov_b32_e32 v11, s15
	s_waitcnt vmcnt(0)
	v_readfirstlane_b32 s18, v0
	v_readfirstlane_b32 s19, v1
	s_and_b64 s[18:19], s[18:19], s[14:15]
	s_mul_i32 s19, s19, 24
	s_mul_hi_u32 s20, s18, 24
	s_mul_i32 s18, s18, 24
	s_add_i32 s19, s20, s19
	v_mov_b32_e32 v0, s19
	v_add_co_u32_e32 v8, vcc, s18, v24
	v_addc_co_u32_e32 v9, vcc, v25, v0, vcc
	global_store_dwordx2 v[8:9], v[12:13], off
	buffer_wbl2
	s_waitcnt vmcnt(0)
	global_atomic_cmpswap_x2 v[2:3], v33, v[10:13], s[10:11] offset:32 glc
	s_waitcnt vmcnt(0)
	v_cmp_ne_u64_e32 vcc, v[2:3], v[12:13]
	s_and_saveexec_b64 s[18:19], vcc
	s_cbranch_execz .LBB1_350
; %bb.348:                              ;   in Loop: Header=BB1_282 Depth=1
	s_mov_b64 s[20:21], 0
.LBB1_349:                              ;   Parent Loop BB1_282 Depth=1
                                        ; =>  This Inner Loop Header: Depth=2
	s_sleep 1
	global_store_dwordx2 v[8:9], v[2:3], off
	v_mov_b32_e32 v0, s14
	v_mov_b32_e32 v1, s15
	buffer_wbl2
	s_waitcnt vmcnt(0)
	global_atomic_cmpswap_x2 v[0:1], v33, v[0:3], s[10:11] offset:32 glc
	s_waitcnt vmcnt(0)
	v_cmp_eq_u64_e32 vcc, v[0:1], v[2:3]
	s_or_b64 s[20:21], vcc, s[20:21]
	v_pk_mov_b32 v[2:3], v[0:1], v[0:1] op_sel:[0,1]
	s_andn2_b64 exec, exec, s[20:21]
	s_cbranch_execnz .LBB1_349
.LBB1_350:                              ;   in Loop: Header=BB1_282 Depth=1
	s_or_b64 exec, exec, s[18:19]
	global_load_dwordx2 v[0:1], v33, s[10:11] offset:16
	s_mov_b64 s[20:21], exec
	v_mbcnt_lo_u32_b32 v2, s20, 0
	v_mbcnt_hi_u32_b32 v2, s21, v2
	v_cmp_eq_u32_e32 vcc, 0, v2
	s_and_saveexec_b64 s[18:19], vcc
	s_cbranch_execz .LBB1_352
; %bb.351:                              ;   in Loop: Header=BB1_282 Depth=1
	s_bcnt1_i32_b64 s20, s[20:21]
	v_mov_b32_e32 v32, s20
	buffer_wbl2
	s_waitcnt vmcnt(0)
	global_atomic_add_x2 v[0:1], v[32:33], off offset:8
.LBB1_352:                              ;   in Loop: Header=BB1_282 Depth=1
	s_or_b64 exec, exec, s[18:19]
	s_waitcnt vmcnt(0)
	global_load_dwordx2 v[2:3], v[0:1], off offset:16
	s_waitcnt vmcnt(0)
	v_cmp_eq_u64_e32 vcc, 0, v[2:3]
	s_cbranch_vccnz .LBB1_354
; %bb.353:                              ;   in Loop: Header=BB1_282 Depth=1
	global_load_dword v32, v[0:1], off offset:24
	s_waitcnt vmcnt(0)
	v_and_b32_e32 v0, 0xffffff, v32
	v_readfirstlane_b32 m0, v0
	buffer_wbl2
	global_store_dwordx2 v[2:3], v[32:33], off
	s_sendmsg sendmsg(MSG_INTERRUPT)
.LBB1_354:                              ;   in Loop: Header=BB1_282 Depth=1
	s_or_b64 exec, exec, s[16:17]
	v_add_co_u32_e32 v0, vcc, v26, v48
	v_addc_co_u32_e32 v1, vcc, 0, v27, vcc
	s_branch .LBB1_358
.LBB1_355:                              ;   in Loop: Header=BB1_358 Depth=2
	s_or_b64 exec, exec, s[16:17]
	v_readfirstlane_b32 s16, v2
	s_cmp_eq_u32 s16, 0
	s_cbranch_scc1 .LBB1_357
; %bb.356:                              ;   in Loop: Header=BB1_358 Depth=2
	s_sleep 1
	s_cbranch_execnz .LBB1_358
	s_branch .LBB1_360
.LBB1_357:                              ;   in Loop: Header=BB1_282 Depth=1
	s_branch .LBB1_360
.LBB1_358:                              ;   Parent Loop BB1_282 Depth=1
                                        ; =>  This Inner Loop Header: Depth=2
	v_mov_b32_e32 v2, 1
	s_and_saveexec_b64 s[16:17], s[4:5]
	s_cbranch_execz .LBB1_355
; %bb.359:                              ;   in Loop: Header=BB1_358 Depth=2
	global_load_dword v2, v[38:39], off offset:20 glc
	s_waitcnt vmcnt(0)
	buffer_invl2
	buffer_wbinvl1_vol
	v_and_b32_e32 v2, 1, v2
	s_branch .LBB1_355
.LBB1_360:                              ;   in Loop: Header=BB1_282 Depth=1
	global_load_dwordx4 v[0:3], v[0:1], off
	s_and_saveexec_b64 s[16:17], s[4:5]
	s_cbranch_execz .LBB1_281
; %bb.361:                              ;   in Loop: Header=BB1_282 Depth=1
	global_load_dwordx2 v[2:3], v33, s[10:11] offset:40
	global_load_dwordx2 v[12:13], v33, s[10:11] offset:24 glc
	global_load_dwordx2 v[14:15], v33, s[10:11]
	v_mov_b32_e32 v9, s15
	s_waitcnt vmcnt(2)
	v_add_co_u32_e32 v11, vcc, 1, v2
	v_addc_co_u32_e32 v16, vcc, 0, v3, vcc
	v_add_co_u32_e32 v8, vcc, s14, v11
	v_addc_co_u32_e32 v9, vcc, v16, v9, vcc
	v_cmp_eq_u64_e32 vcc, 0, v[8:9]
	v_cndmask_b32_e32 v9, v9, v16, vcc
	v_cndmask_b32_e32 v8, v8, v11, vcc
	v_and_b32_e32 v3, v9, v3
	v_and_b32_e32 v2, v8, v2
	v_mul_lo_u32 v3, v3, 24
	v_mul_hi_u32 v11, v2, 24
	v_mul_lo_u32 v2, v2, 24
	v_add_u32_e32 v3, v11, v3
	s_waitcnt vmcnt(0)
	v_add_co_u32_e32 v2, vcc, v14, v2
	v_addc_co_u32_e32 v3, vcc, v15, v3, vcc
	v_mov_b32_e32 v10, v12
	global_store_dwordx2 v[2:3], v[12:13], off
	v_mov_b32_e32 v11, v13
	buffer_wbl2
	s_waitcnt vmcnt(0)
	global_atomic_cmpswap_x2 v[10:11], v33, v[8:11], s[10:11] offset:24 glc
	s_waitcnt vmcnt(0)
	v_cmp_ne_u64_e32 vcc, v[10:11], v[12:13]
	s_and_b64 exec, exec, vcc
	s_cbranch_execz .LBB1_281
; %bb.362:                              ;   in Loop: Header=BB1_282 Depth=1
	s_mov_b64 s[4:5], 0
.LBB1_363:                              ;   Parent Loop BB1_282 Depth=1
                                        ; =>  This Inner Loop Header: Depth=2
	s_sleep 1
	global_store_dwordx2 v[2:3], v[10:11], off
	buffer_wbl2
	s_waitcnt vmcnt(0)
	global_atomic_cmpswap_x2 v[12:13], v33, v[8:11], s[10:11] offset:24 glc
	s_waitcnt vmcnt(0)
	v_cmp_eq_u64_e32 vcc, v[12:13], v[10:11]
	s_or_b64 s[4:5], vcc, s[4:5]
	v_pk_mov_b32 v[10:11], v[12:13], v[12:13] op_sel:[0,1]
	s_andn2_b64 exec, exec, s[4:5]
	s_cbranch_execnz .LBB1_363
	s_branch .LBB1_281
.LBB1_364:
	s_or_b64 exec, exec, s[6:7]
                                        ; implicit-def: $vgpr48
                                        ; implicit-def: $vgpr49
.LBB1_365:
	s_andn2_saveexec_b64 s[6:7], s[12:13]
	s_cbranch_execz .LBB1_392
; %bb.366:
	v_readfirstlane_b32 s4, v49
	v_cmp_eq_u32_e64 s[4:5], s4, v49
	v_pk_mov_b32 v[4:5], 0, 0
	s_and_saveexec_b64 s[12:13], s[4:5]
	s_cbranch_execz .LBB1_372
; %bb.367:
	s_waitcnt vmcnt(0)
	v_mov_b32_e32 v2, 0
	global_load_dwordx2 v[10:11], v2, s[10:11] offset:24 glc
	s_waitcnt vmcnt(0)
	buffer_invl2
	buffer_wbinvl1_vol
	global_load_dwordx2 v[4:5], v2, s[10:11] offset:40
	global_load_dwordx2 v[8:9], v2, s[10:11]
	s_waitcnt vmcnt(1)
	v_and_b32_e32 v3, v4, v10
	v_and_b32_e32 v4, v5, v11
	v_mul_lo_u32 v4, v4, 24
	v_mul_hi_u32 v5, v3, 24
	v_mul_lo_u32 v3, v3, 24
	v_add_u32_e32 v5, v5, v4
	s_waitcnt vmcnt(0)
	v_add_co_u32_e32 v4, vcc, v8, v3
	v_addc_co_u32_e32 v5, vcc, v9, v5, vcc
	global_load_dwordx2 v[8:9], v[4:5], off glc
	s_waitcnt vmcnt(0)
	global_atomic_cmpswap_x2 v[4:5], v2, v[8:11], s[10:11] offset:24 glc
	s_waitcnt vmcnt(0)
	buffer_invl2
	buffer_wbinvl1_vol
	v_cmp_ne_u64_e32 vcc, v[4:5], v[10:11]
	s_and_saveexec_b64 s[14:15], vcc
	s_cbranch_execz .LBB1_371
; %bb.368:
	s_mov_b64 s[16:17], 0
.LBB1_369:                              ; =>This Inner Loop Header: Depth=1
	s_sleep 1
	global_load_dwordx2 v[8:9], v2, s[10:11] offset:40
	global_load_dwordx2 v[12:13], v2, s[10:11]
	v_pk_mov_b32 v[10:11], v[4:5], v[4:5] op_sel:[0,1]
	s_waitcnt vmcnt(1)
	v_and_b32_e32 v4, v8, v10
	s_waitcnt vmcnt(0)
	v_mad_u64_u32 v[4:5], s[18:19], v4, 24, v[12:13]
	v_and_b32_e32 v3, v9, v11
	v_mov_b32_e32 v8, v5
	v_mad_u64_u32 v[8:9], s[18:19], v3, 24, v[8:9]
	v_mov_b32_e32 v5, v8
	global_load_dwordx2 v[8:9], v[4:5], off glc
	s_waitcnt vmcnt(0)
	global_atomic_cmpswap_x2 v[4:5], v2, v[8:11], s[10:11] offset:24 glc
	s_waitcnt vmcnt(0)
	buffer_invl2
	buffer_wbinvl1_vol
	v_cmp_eq_u64_e32 vcc, v[4:5], v[10:11]
	s_or_b64 s[16:17], vcc, s[16:17]
	s_andn2_b64 exec, exec, s[16:17]
	s_cbranch_execnz .LBB1_369
; %bb.370:
	s_or_b64 exec, exec, s[16:17]
.LBB1_371:
	s_or_b64 exec, exec, s[14:15]
.LBB1_372:
	s_or_b64 exec, exec, s[12:13]
	s_waitcnt vmcnt(0)
	v_mov_b32_e32 v2, 0
	global_load_dwordx2 v[12:13], v2, s[10:11] offset:40
	global_load_dwordx4 v[8:11], v2, s[10:11]
	v_readfirstlane_b32 s12, v4
	v_readfirstlane_b32 s13, v5
	s_mov_b64 s[14:15], exec
	s_waitcnt vmcnt(1)
	v_readfirstlane_b32 s16, v12
	v_readfirstlane_b32 s17, v13
	s_and_b64 s[16:17], s[12:13], s[16:17]
	s_mul_i32 s18, s17, 24
	s_mul_hi_u32 s19, s16, 24
	s_mul_i32 s20, s16, 24
	s_add_i32 s18, s19, s18
	v_mov_b32_e32 v3, s18
	s_waitcnt vmcnt(0)
	v_add_co_u32_e32 v4, vcc, s20, v8
	v_addc_co_u32_e32 v5, vcc, v9, v3, vcc
	s_and_saveexec_b64 s[18:19], s[4:5]
	s_cbranch_execz .LBB1_374
; %bb.373:
	v_pk_mov_b32 v[12:13], s[14:15], s[14:15] op_sel:[0,1]
	v_mov_b32_e32 v14, 2
	v_mov_b32_e32 v15, 1
	global_store_dwordx4 v[4:5], v[12:15], off offset:8
.LBB1_374:
	s_or_b64 exec, exec, s[18:19]
	s_lshl_b64 s[14:15], s[16:17], 12
	v_mov_b32_e32 v3, s15
	v_add_co_u32_e32 v12, vcc, s14, v10
	v_addc_co_u32_e32 v13, vcc, v11, v3, vcc
	s_movk_i32 s14, 0xff1f
	s_mov_b32 s16, 0
	v_and_or_b32 v0, v0, s14, 32
	v_mov_b32_e32 v3, v2
	v_readfirstlane_b32 s14, v12
	v_readfirstlane_b32 s15, v13
	s_mov_b32 s17, s16
	v_add_co_u32_e32 v10, vcc, v12, v48
	s_mov_b32 s18, s16
	s_mov_b32 s19, s16
	s_nop 0
	global_store_dwordx4 v48, v[0:3], s[14:15]
	v_addc_co_u32_e32 v11, vcc, 0, v13, vcc
	v_pk_mov_b32 v[0:1], s[16:17], s[16:17] op_sel:[0,1]
	v_pk_mov_b32 v[2:3], s[18:19], s[18:19] op_sel:[0,1]
	global_store_dwordx4 v48, v[0:3], s[14:15] offset:16
	global_store_dwordx4 v48, v[0:3], s[14:15] offset:32
	;; [unrolled: 1-line block ×3, first 2 shown]
	s_and_saveexec_b64 s[14:15], s[4:5]
	s_cbranch_execz .LBB1_382
; %bb.375:
	v_mov_b32_e32 v12, 0
	global_load_dwordx2 v[16:17], v12, s[10:11] offset:32 glc
	global_load_dwordx2 v[0:1], v12, s[10:11] offset:40
	v_mov_b32_e32 v14, s12
	v_mov_b32_e32 v15, s13
	s_waitcnt vmcnt(0)
	v_readfirstlane_b32 s16, v0
	v_readfirstlane_b32 s17, v1
	s_and_b64 s[16:17], s[16:17], s[12:13]
	s_mul_i32 s17, s17, 24
	s_mul_hi_u32 s18, s16, 24
	s_mul_i32 s16, s16, 24
	s_add_i32 s17, s18, s17
	v_mov_b32_e32 v0, s17
	v_add_co_u32_e32 v8, vcc, s16, v8
	v_addc_co_u32_e32 v9, vcc, v9, v0, vcc
	global_store_dwordx2 v[8:9], v[16:17], off
	buffer_wbl2
	s_waitcnt vmcnt(0)
	global_atomic_cmpswap_x2 v[2:3], v12, v[14:17], s[10:11] offset:32 glc
	s_waitcnt vmcnt(0)
	v_cmp_ne_u64_e32 vcc, v[2:3], v[16:17]
	s_and_saveexec_b64 s[16:17], vcc
	s_cbranch_execz .LBB1_378
; %bb.376:
	s_mov_b64 s[18:19], 0
.LBB1_377:                              ; =>This Inner Loop Header: Depth=1
	s_sleep 1
	global_store_dwordx2 v[8:9], v[2:3], off
	v_mov_b32_e32 v0, s12
	v_mov_b32_e32 v1, s13
	buffer_wbl2
	s_waitcnt vmcnt(0)
	global_atomic_cmpswap_x2 v[0:1], v12, v[0:3], s[10:11] offset:32 glc
	s_waitcnt vmcnt(0)
	v_cmp_eq_u64_e32 vcc, v[0:1], v[2:3]
	s_or_b64 s[18:19], vcc, s[18:19]
	v_pk_mov_b32 v[2:3], v[0:1], v[0:1] op_sel:[0,1]
	s_andn2_b64 exec, exec, s[18:19]
	s_cbranch_execnz .LBB1_377
.LBB1_378:
	s_or_b64 exec, exec, s[16:17]
	v_mov_b32_e32 v3, 0
	global_load_dwordx2 v[0:1], v3, s[10:11] offset:16
	s_mov_b64 s[16:17], exec
	v_mbcnt_lo_u32_b32 v2, s16, 0
	v_mbcnt_hi_u32_b32 v2, s17, v2
	v_cmp_eq_u32_e32 vcc, 0, v2
	s_and_saveexec_b64 s[18:19], vcc
	s_cbranch_execz .LBB1_380
; %bb.379:
	s_bcnt1_i32_b64 s16, s[16:17]
	v_mov_b32_e32 v2, s16
	buffer_wbl2
	s_waitcnt vmcnt(0)
	global_atomic_add_x2 v[0:1], v[2:3], off offset:8
.LBB1_380:
	s_or_b64 exec, exec, s[18:19]
	s_waitcnt vmcnt(0)
	global_load_dwordx2 v[2:3], v[0:1], off offset:16
	s_waitcnt vmcnt(0)
	v_cmp_eq_u64_e32 vcc, 0, v[2:3]
	s_cbranch_vccnz .LBB1_382
; %bb.381:
	global_load_dword v0, v[0:1], off offset:24
	v_mov_b32_e32 v1, 0
	buffer_wbl2
	s_waitcnt vmcnt(0)
	global_store_dwordx2 v[2:3], v[0:1], off
	v_and_b32_e32 v0, 0xffffff, v0
	v_readfirstlane_b32 m0, v0
	s_sendmsg sendmsg(MSG_INTERRUPT)
.LBB1_382:
	s_or_b64 exec, exec, s[14:15]
	s_branch .LBB1_386
.LBB1_383:                              ;   in Loop: Header=BB1_386 Depth=1
	s_or_b64 exec, exec, s[14:15]
	v_readfirstlane_b32 s14, v0
	s_cmp_eq_u32 s14, 0
	s_cbranch_scc1 .LBB1_385
; %bb.384:                              ;   in Loop: Header=BB1_386 Depth=1
	s_sleep 1
	s_cbranch_execnz .LBB1_386
	s_branch .LBB1_388
.LBB1_385:
	s_branch .LBB1_388
.LBB1_386:                              ; =>This Inner Loop Header: Depth=1
	v_mov_b32_e32 v0, 1
	s_and_saveexec_b64 s[14:15], s[4:5]
	s_cbranch_execz .LBB1_383
; %bb.387:                              ;   in Loop: Header=BB1_386 Depth=1
	global_load_dword v0, v[4:5], off offset:20 glc
	s_waitcnt vmcnt(0)
	buffer_invl2
	buffer_wbinvl1_vol
	v_and_b32_e32 v0, 1, v0
	s_branch .LBB1_383
.LBB1_388:
	global_load_dwordx2 v[0:1], v[10:11], off
	s_and_saveexec_b64 s[14:15], s[4:5]
	s_cbranch_execz .LBB1_391
; %bb.389:
	v_mov_b32_e32 v10, 0
	global_load_dwordx2 v[8:9], v10, s[10:11] offset:40
	global_load_dwordx2 v[12:13], v10, s[10:11] offset:24 glc
	global_load_dwordx2 v[14:15], v10, s[10:11]
	v_mov_b32_e32 v3, s13
	s_mov_b64 s[4:5], 0
	s_waitcnt vmcnt(2)
	v_add_co_u32_e32 v5, vcc, 1, v8
	v_addc_co_u32_e32 v11, vcc, 0, v9, vcc
	v_add_co_u32_e32 v2, vcc, s12, v5
	v_addc_co_u32_e32 v3, vcc, v11, v3, vcc
	v_cmp_eq_u64_e32 vcc, 0, v[2:3]
	v_cndmask_b32_e32 v3, v3, v11, vcc
	v_cndmask_b32_e32 v2, v2, v5, vcc
	v_and_b32_e32 v5, v3, v9
	v_and_b32_e32 v8, v2, v8
	v_mul_lo_u32 v5, v5, 24
	v_mul_hi_u32 v9, v8, 24
	v_mul_lo_u32 v8, v8, 24
	v_add_u32_e32 v5, v9, v5
	s_waitcnt vmcnt(0)
	v_add_co_u32_e32 v8, vcc, v14, v8
	v_addc_co_u32_e32 v9, vcc, v15, v5, vcc
	v_mov_b32_e32 v4, v12
	global_store_dwordx2 v[8:9], v[12:13], off
	v_mov_b32_e32 v5, v13
	buffer_wbl2
	s_waitcnt vmcnt(0)
	global_atomic_cmpswap_x2 v[4:5], v10, v[2:5], s[10:11] offset:24 glc
	s_waitcnt vmcnt(0)
	v_cmp_ne_u64_e32 vcc, v[4:5], v[12:13]
	s_and_b64 exec, exec, vcc
	s_cbranch_execz .LBB1_391
.LBB1_390:                              ; =>This Inner Loop Header: Depth=1
	s_sleep 1
	global_store_dwordx2 v[8:9], v[4:5], off
	buffer_wbl2
	s_waitcnt vmcnt(0)
	global_atomic_cmpswap_x2 v[12:13], v10, v[2:5], s[10:11] offset:24 glc
	s_waitcnt vmcnt(0)
	v_cmp_eq_u64_e32 vcc, v[12:13], v[4:5]
	s_or_b64 s[4:5], vcc, s[4:5]
	v_pk_mov_b32 v[4:5], v[12:13], v[12:13] op_sel:[0,1]
	s_andn2_b64 exec, exec, s[4:5]
	s_cbranch_execnz .LBB1_390
.LBB1_391:
	s_or_b64 exec, exec, s[14:15]
.LBB1_392:
	s_or_b64 exec, exec, s[6:7]
	s_mov_b64 s[4:5], 0
	s_waitcnt vmcnt(0)
	v_pk_mov_b32 v[2:3], v[6:7], v[6:7] op_sel:[0,1]
.LBB1_393:                              ; =>This Inner Loop Header: Depth=1
	flat_load_ubyte v8, v[2:3]
	v_add_co_u32_e32 v4, vcc, 1, v2
	v_addc_co_u32_e32 v5, vcc, 0, v3, vcc
	v_pk_mov_b32 v[2:3], v[4:5], v[4:5] op_sel:[0,1]
	s_waitcnt vmcnt(0) lgkmcnt(0)
	v_cmp_eq_u16_e32 vcc, 0, v8
	s_or_b64 s[4:5], vcc, s[4:5]
	s_andn2_b64 exec, exec, s[4:5]
	s_cbranch_execnz .LBB1_393
; %bb.394:
	s_or_b64 exec, exec, s[4:5]
	v_sub_u32_e32 v4, v4, v6
	v_ashrrev_i32_e32 v5, 31, v4
	v_mov_b32_e32 v2, v6
	v_mov_b32_e32 v3, v7
	v_mov_b32_e32 v6, 1
	s_getpc_b64 s[4:5]
	s_add_u32 s4, s4, __ockl_fprintf_append_string_n@rel32@lo+4
	s_addc_u32 s5, s5, __ockl_fprintf_append_string_n@rel32@hi+12
	s_swappc_b64 s[30:31], s[4:5]
	s_trap 2
.Lfunc_end1:
	.size	__assert_fail, .Lfunc_end1-__assert_fail
                                        ; -- End function
	.section	.AMDGPU.csdata,"",@progbits
; Function info:
; codeLenInByte = 15368
; NumSgprs: 38
; NumVgprs: 51
; NumAgprs: 0
; TotalNumVgprs: 51
; ScratchSize: 64
; MemoryBound: 0
	.section	.text._ZN4vllm18act_and_mul_kernelIf15HIP_vector_typeIfLj2EETnPFT_RKS3_EXadL_ZNS_11silu_kernelIfEES3_S5_EETnPFT0_RKS9_EXadL_ZNS_18packed_silu_kernelIS2_EES3_S5_EELb1ELb1ELb0ELb1EEEvPS3_PS4_if,"axG",@progbits,_ZN4vllm18act_and_mul_kernelIf15HIP_vector_typeIfLj2EETnPFT_RKS3_EXadL_ZNS_11silu_kernelIfEES3_S5_EETnPFT0_RKS9_EXadL_ZNS_18packed_silu_kernelIS2_EES3_S5_EELb1ELb1ELb0ELb1EEEvPS3_PS4_if,comdat
	.protected	_ZN4vllm18act_and_mul_kernelIf15HIP_vector_typeIfLj2EETnPFT_RKS3_EXadL_ZNS_11silu_kernelIfEES3_S5_EETnPFT0_RKS9_EXadL_ZNS_18packed_silu_kernelIS2_EES3_S5_EELb1ELb1ELb0ELb1EEEvPS3_PS4_if ; -- Begin function _ZN4vllm18act_and_mul_kernelIf15HIP_vector_typeIfLj2EETnPFT_RKS3_EXadL_ZNS_11silu_kernelIfEES3_S5_EETnPFT0_RKS9_EXadL_ZNS_18packed_silu_kernelIS2_EES3_S5_EELb1ELb1ELb0ELb1EEEvPS3_PS4_if
	.globl	_ZN4vllm18act_and_mul_kernelIf15HIP_vector_typeIfLj2EETnPFT_RKS3_EXadL_ZNS_11silu_kernelIfEES3_S5_EETnPFT0_RKS9_EXadL_ZNS_18packed_silu_kernelIS2_EES3_S5_EELb1ELb1ELb0ELb1EEEvPS3_PS4_if
	.p2align	8
	.type	_ZN4vllm18act_and_mul_kernelIf15HIP_vector_typeIfLj2EETnPFT_RKS3_EXadL_ZNS_11silu_kernelIfEES3_S5_EETnPFT0_RKS9_EXadL_ZNS_18packed_silu_kernelIS2_EES3_S5_EELb1ELb1ELb0ELb1EEEvPS3_PS4_if,@function
_ZN4vllm18act_and_mul_kernelIf15HIP_vector_typeIfLj2EETnPFT_RKS3_EXadL_ZNS_11silu_kernelIfEES3_S5_EETnPFT0_RKS9_EXadL_ZNS_18packed_silu_kernelIS2_EES3_S5_EELb1ELb1ELb0ELb1EEEvPS3_PS4_if: ; @_ZN4vllm18act_and_mul_kernelIf15HIP_vector_typeIfLj2EETnPFT_RKS3_EXadL_ZNS_11silu_kernelIfEES3_S5_EETnPFT0_RKS9_EXadL_ZNS_18packed_silu_kernelIS2_EES3_S5_EELb1ELb1ELb0ELb1EEEvPS3_PS4_if
; %bb.0:
	s_add_u32 flat_scratch_lo, s6, s9
	s_load_dword s6, s[4:5], 0x10
	s_addc_u32 flat_scratch_hi, s7, 0
	s_add_u32 s0, s0, s9
	s_addc_u32 s1, s1, 0
	s_mov_b32 s32, 0
	s_waitcnt lgkmcnt(0)
	s_ashr_i32 s7, s6, 31
	s_lshr_b32 s7, s7, 29
	s_add_i32 s6, s6, s7
	s_ashr_i32 s6, s6, 3
	v_cmp_gt_i32_e32 vcc, s6, v0
	s_and_saveexec_b64 s[6:7], vcc
	s_cbranch_execz .LBB2_2
; %bb.1:
	s_add_u32 s8, s4, 24
	s_addc_u32 s9, s5, 0
	s_getpc_b64 s[4:5]
	s_add_u32 s4, s4, .str@rel32@lo+4
	s_addc_u32 s5, s5, .str@rel32@hi+12
	s_getpc_b64 s[6:7]
	s_add_u32 s6, s6, __PRETTY_FUNCTION__._ZN4vllm5ld256ERNS_7u32x8_tEPKS0_@rel32@lo+4
	s_addc_u32 s7, s7, __PRETTY_FUNCTION__._ZN4vllm5ld256ERNS_7u32x8_tEPKS0_@rel32@hi+12
	v_mov_b32_e32 v0, s4
	v_mov_b32_e32 v1, s5
	;; [unrolled: 1-line block ×5, first 2 shown]
	s_getpc_b64 s[10:11]
	s_add_u32 s10, s10, __assert_fail@rel32@lo+4
	s_addc_u32 s11, s11, __assert_fail@rel32@hi+12
	s_swappc_b64 s[30:31], s[10:11]
	; divergent unreachable
.LBB2_2:
	s_endpgm
	.section	.rodata,"a",@progbits
	.p2align	6, 0x0
	.amdhsa_kernel _ZN4vllm18act_and_mul_kernelIf15HIP_vector_typeIfLj2EETnPFT_RKS3_EXadL_ZNS_11silu_kernelIfEES3_S5_EETnPFT0_RKS9_EXadL_ZNS_18packed_silu_kernelIS2_EES3_S5_EELb1ELb1ELb0ELb1EEEvPS3_PS4_if
		.amdhsa_group_segment_fixed_size 0
		.amdhsa_private_segment_fixed_size 64
		.amdhsa_kernarg_size 280
		.amdhsa_user_sgpr_count 8
		.amdhsa_user_sgpr_private_segment_buffer 1
		.amdhsa_user_sgpr_dispatch_ptr 0
		.amdhsa_user_sgpr_queue_ptr 0
		.amdhsa_user_sgpr_kernarg_segment_ptr 1
		.amdhsa_user_sgpr_dispatch_id 0
		.amdhsa_user_sgpr_flat_scratch_init 1
		.amdhsa_user_sgpr_kernarg_preload_length 0
		.amdhsa_user_sgpr_kernarg_preload_offset 0
		.amdhsa_user_sgpr_private_segment_size 0
		.amdhsa_uses_dynamic_stack 0
		.amdhsa_system_sgpr_private_segment_wavefront_offset 1
		.amdhsa_system_sgpr_workgroup_id_x 1
		.amdhsa_system_sgpr_workgroup_id_y 0
		.amdhsa_system_sgpr_workgroup_id_z 0
		.amdhsa_system_sgpr_workgroup_info 0
		.amdhsa_system_vgpr_workitem_id 0
		.amdhsa_next_free_vgpr 51
		.amdhsa_next_free_sgpr 34
		.amdhsa_accum_offset 52
		.amdhsa_reserve_vcc 1
		.amdhsa_reserve_flat_scratch 1
		.amdhsa_float_round_mode_32 0
		.amdhsa_float_round_mode_16_64 0
		.amdhsa_float_denorm_mode_32 3
		.amdhsa_float_denorm_mode_16_64 3
		.amdhsa_dx10_clamp 1
		.amdhsa_ieee_mode 1
		.amdhsa_fp16_overflow 0
		.amdhsa_tg_split 0
		.amdhsa_exception_fp_ieee_invalid_op 0
		.amdhsa_exception_fp_denorm_src 0
		.amdhsa_exception_fp_ieee_div_zero 0
		.amdhsa_exception_fp_ieee_overflow 0
		.amdhsa_exception_fp_ieee_underflow 0
		.amdhsa_exception_fp_ieee_inexact 0
		.amdhsa_exception_int_div_zero 0
	.end_amdhsa_kernel
	.section	.text._ZN4vllm18act_and_mul_kernelIf15HIP_vector_typeIfLj2EETnPFT_RKS3_EXadL_ZNS_11silu_kernelIfEES3_S5_EETnPFT0_RKS9_EXadL_ZNS_18packed_silu_kernelIS2_EES3_S5_EELb1ELb1ELb0ELb1EEEvPS3_PS4_if,"axG",@progbits,_ZN4vllm18act_and_mul_kernelIf15HIP_vector_typeIfLj2EETnPFT_RKS3_EXadL_ZNS_11silu_kernelIfEES3_S5_EETnPFT0_RKS9_EXadL_ZNS_18packed_silu_kernelIS2_EES3_S5_EELb1ELb1ELb0ELb1EEEvPS3_PS4_if,comdat
.Lfunc_end2:
	.size	_ZN4vllm18act_and_mul_kernelIf15HIP_vector_typeIfLj2EETnPFT_RKS3_EXadL_ZNS_11silu_kernelIfEES3_S5_EETnPFT0_RKS9_EXadL_ZNS_18packed_silu_kernelIS2_EES3_S5_EELb1ELb1ELb0ELb1EEEvPS3_PS4_if, .Lfunc_end2-_ZN4vllm18act_and_mul_kernelIf15HIP_vector_typeIfLj2EETnPFT_RKS3_EXadL_ZNS_11silu_kernelIfEES3_S5_EETnPFT0_RKS9_EXadL_ZNS_18packed_silu_kernelIS2_EES3_S5_EELb1ELb1ELb0ELb1EEEvPS3_PS4_if
                                        ; -- End function
	.section	.AMDGPU.csdata,"",@progbits
; Kernel info:
; codeLenInByte = 160
; NumSgprs: 40
; NumVgprs: 51
; NumAgprs: 0
; TotalNumVgprs: 51
; ScratchSize: 64
; MemoryBound: 0
; FloatMode: 240
; IeeeMode: 1
; LDSByteSize: 0 bytes/workgroup (compile time only)
; SGPRBlocks: 4
; VGPRBlocks: 6
; NumSGPRsForWavesPerEU: 40
; NumVGPRsForWavesPerEU: 51
; AccumOffset: 52
; Occupancy: 8
; WaveLimiterHint : 1
; COMPUTE_PGM_RSRC2:SCRATCH_EN: 1
; COMPUTE_PGM_RSRC2:USER_SGPR: 8
; COMPUTE_PGM_RSRC2:TRAP_HANDLER: 0
; COMPUTE_PGM_RSRC2:TGID_X_EN: 1
; COMPUTE_PGM_RSRC2:TGID_Y_EN: 0
; COMPUTE_PGM_RSRC2:TGID_Z_EN: 0
; COMPUTE_PGM_RSRC2:TIDIG_COMP_CNT: 0
; COMPUTE_PGM_RSRC3_GFX90A:ACCUM_OFFSET: 12
; COMPUTE_PGM_RSRC3_GFX90A:TG_SPLIT: 0
	.section	.text._ZN4vllm18act_and_mul_kernelIN3c104HalfE7__half2TnPFT_RKS4_EXadL_ZNS_11silu_kernelIS2_EES4_S6_EETnPFT0_RKSA_EXadL_ZNS_18packed_silu_kernelIS3_EES4_S6_EELb1ELb1ELb0ELb1EEEvPS4_PS5_if,"axG",@progbits,_ZN4vllm18act_and_mul_kernelIN3c104HalfE7__half2TnPFT_RKS4_EXadL_ZNS_11silu_kernelIS2_EES4_S6_EETnPFT0_RKSA_EXadL_ZNS_18packed_silu_kernelIS3_EES4_S6_EELb1ELb1ELb0ELb1EEEvPS4_PS5_if,comdat
	.protected	_ZN4vllm18act_and_mul_kernelIN3c104HalfE7__half2TnPFT_RKS4_EXadL_ZNS_11silu_kernelIS2_EES4_S6_EETnPFT0_RKSA_EXadL_ZNS_18packed_silu_kernelIS3_EES4_S6_EELb1ELb1ELb0ELb1EEEvPS4_PS5_if ; -- Begin function _ZN4vllm18act_and_mul_kernelIN3c104HalfE7__half2TnPFT_RKS4_EXadL_ZNS_11silu_kernelIS2_EES4_S6_EETnPFT0_RKSA_EXadL_ZNS_18packed_silu_kernelIS3_EES4_S6_EELb1ELb1ELb0ELb1EEEvPS4_PS5_if
	.globl	_ZN4vllm18act_and_mul_kernelIN3c104HalfE7__half2TnPFT_RKS4_EXadL_ZNS_11silu_kernelIS2_EES4_S6_EETnPFT0_RKSA_EXadL_ZNS_18packed_silu_kernelIS3_EES4_S6_EELb1ELb1ELb0ELb1EEEvPS4_PS5_if
	.p2align	8
	.type	_ZN4vllm18act_and_mul_kernelIN3c104HalfE7__half2TnPFT_RKS4_EXadL_ZNS_11silu_kernelIS2_EES4_S6_EETnPFT0_RKSA_EXadL_ZNS_18packed_silu_kernelIS3_EES4_S6_EELb1ELb1ELb0ELb1EEEvPS4_PS5_if,@function
_ZN4vllm18act_and_mul_kernelIN3c104HalfE7__half2TnPFT_RKS4_EXadL_ZNS_11silu_kernelIS2_EES4_S6_EETnPFT0_RKSA_EXadL_ZNS_18packed_silu_kernelIS3_EES4_S6_EELb1ELb1ELb0ELb1EEEvPS4_PS5_if: ; @_ZN4vllm18act_and_mul_kernelIN3c104HalfE7__half2TnPFT_RKS4_EXadL_ZNS_11silu_kernelIS2_EES4_S6_EETnPFT0_RKSA_EXadL_ZNS_18packed_silu_kernelIS3_EES4_S6_EELb1ELb1ELb0ELb1EEEvPS4_PS5_if
; %bb.0:
	s_add_u32 flat_scratch_lo, s6, s9
	s_load_dword s6, s[4:5], 0x10
	s_addc_u32 flat_scratch_hi, s7, 0
	s_add_u32 s0, s0, s9
	s_addc_u32 s1, s1, 0
	s_mov_b32 s32, 0
	s_waitcnt lgkmcnt(0)
	s_ashr_i32 s7, s6, 31
	s_lshr_b32 s7, s7, 28
	s_add_i32 s6, s6, s7
	s_ashr_i32 s6, s6, 4
	v_cmp_gt_i32_e32 vcc, s6, v0
	s_and_saveexec_b64 s[6:7], vcc
	s_cbranch_execz .LBB3_2
; %bb.1:
	s_add_u32 s8, s4, 24
	s_addc_u32 s9, s5, 0
	s_getpc_b64 s[4:5]
	s_add_u32 s4, s4, .str@rel32@lo+4
	s_addc_u32 s5, s5, .str@rel32@hi+12
	s_getpc_b64 s[6:7]
	s_add_u32 s6, s6, __PRETTY_FUNCTION__._ZN4vllm5ld256ERNS_7u32x8_tEPKS0_@rel32@lo+4
	s_addc_u32 s7, s7, __PRETTY_FUNCTION__._ZN4vllm5ld256ERNS_7u32x8_tEPKS0_@rel32@hi+12
	v_mov_b32_e32 v0, s4
	v_mov_b32_e32 v1, s5
	;; [unrolled: 1-line block ×5, first 2 shown]
	s_getpc_b64 s[10:11]
	s_add_u32 s10, s10, __assert_fail@rel32@lo+4
	s_addc_u32 s11, s11, __assert_fail@rel32@hi+12
	s_swappc_b64 s[30:31], s[10:11]
	; divergent unreachable
.LBB3_2:
	s_endpgm
	.section	.rodata,"a",@progbits
	.p2align	6, 0x0
	.amdhsa_kernel _ZN4vllm18act_and_mul_kernelIN3c104HalfE7__half2TnPFT_RKS4_EXadL_ZNS_11silu_kernelIS2_EES4_S6_EETnPFT0_RKSA_EXadL_ZNS_18packed_silu_kernelIS3_EES4_S6_EELb1ELb1ELb0ELb1EEEvPS4_PS5_if
		.amdhsa_group_segment_fixed_size 0
		.amdhsa_private_segment_fixed_size 64
		.amdhsa_kernarg_size 280
		.amdhsa_user_sgpr_count 8
		.amdhsa_user_sgpr_private_segment_buffer 1
		.amdhsa_user_sgpr_dispatch_ptr 0
		.amdhsa_user_sgpr_queue_ptr 0
		.amdhsa_user_sgpr_kernarg_segment_ptr 1
		.amdhsa_user_sgpr_dispatch_id 0
		.amdhsa_user_sgpr_flat_scratch_init 1
		.amdhsa_user_sgpr_kernarg_preload_length 0
		.amdhsa_user_sgpr_kernarg_preload_offset 0
		.amdhsa_user_sgpr_private_segment_size 0
		.amdhsa_uses_dynamic_stack 0
		.amdhsa_system_sgpr_private_segment_wavefront_offset 1
		.amdhsa_system_sgpr_workgroup_id_x 1
		.amdhsa_system_sgpr_workgroup_id_y 0
		.amdhsa_system_sgpr_workgroup_id_z 0
		.amdhsa_system_sgpr_workgroup_info 0
		.amdhsa_system_vgpr_workitem_id 0
		.amdhsa_next_free_vgpr 51
		.amdhsa_next_free_sgpr 34
		.amdhsa_accum_offset 52
		.amdhsa_reserve_vcc 1
		.amdhsa_reserve_flat_scratch 1
		.amdhsa_float_round_mode_32 0
		.amdhsa_float_round_mode_16_64 0
		.amdhsa_float_denorm_mode_32 3
		.amdhsa_float_denorm_mode_16_64 3
		.amdhsa_dx10_clamp 1
		.amdhsa_ieee_mode 1
		.amdhsa_fp16_overflow 0
		.amdhsa_tg_split 0
		.amdhsa_exception_fp_ieee_invalid_op 0
		.amdhsa_exception_fp_denorm_src 0
		.amdhsa_exception_fp_ieee_div_zero 0
		.amdhsa_exception_fp_ieee_overflow 0
		.amdhsa_exception_fp_ieee_underflow 0
		.amdhsa_exception_fp_ieee_inexact 0
		.amdhsa_exception_int_div_zero 0
	.end_amdhsa_kernel
	.section	.text._ZN4vllm18act_and_mul_kernelIN3c104HalfE7__half2TnPFT_RKS4_EXadL_ZNS_11silu_kernelIS2_EES4_S6_EETnPFT0_RKSA_EXadL_ZNS_18packed_silu_kernelIS3_EES4_S6_EELb1ELb1ELb0ELb1EEEvPS4_PS5_if,"axG",@progbits,_ZN4vllm18act_and_mul_kernelIN3c104HalfE7__half2TnPFT_RKS4_EXadL_ZNS_11silu_kernelIS2_EES4_S6_EETnPFT0_RKSA_EXadL_ZNS_18packed_silu_kernelIS3_EES4_S6_EELb1ELb1ELb0ELb1EEEvPS4_PS5_if,comdat
.Lfunc_end3:
	.size	_ZN4vllm18act_and_mul_kernelIN3c104HalfE7__half2TnPFT_RKS4_EXadL_ZNS_11silu_kernelIS2_EES4_S6_EETnPFT0_RKSA_EXadL_ZNS_18packed_silu_kernelIS3_EES4_S6_EELb1ELb1ELb0ELb1EEEvPS4_PS5_if, .Lfunc_end3-_ZN4vllm18act_and_mul_kernelIN3c104HalfE7__half2TnPFT_RKS4_EXadL_ZNS_11silu_kernelIS2_EES4_S6_EETnPFT0_RKSA_EXadL_ZNS_18packed_silu_kernelIS3_EES4_S6_EELb1ELb1ELb0ELb1EEEvPS4_PS5_if
                                        ; -- End function
	.section	.AMDGPU.csdata,"",@progbits
; Kernel info:
; codeLenInByte = 160
; NumSgprs: 40
; NumVgprs: 51
; NumAgprs: 0
; TotalNumVgprs: 51
; ScratchSize: 64
; MemoryBound: 0
; FloatMode: 240
; IeeeMode: 1
; LDSByteSize: 0 bytes/workgroup (compile time only)
; SGPRBlocks: 4
; VGPRBlocks: 6
; NumSGPRsForWavesPerEU: 40
; NumVGPRsForWavesPerEU: 51
; AccumOffset: 52
; Occupancy: 8
; WaveLimiterHint : 1
; COMPUTE_PGM_RSRC2:SCRATCH_EN: 1
; COMPUTE_PGM_RSRC2:USER_SGPR: 8
; COMPUTE_PGM_RSRC2:TRAP_HANDLER: 0
; COMPUTE_PGM_RSRC2:TGID_X_EN: 1
; COMPUTE_PGM_RSRC2:TGID_Y_EN: 0
; COMPUTE_PGM_RSRC2:TGID_Z_EN: 0
; COMPUTE_PGM_RSRC2:TIDIG_COMP_CNT: 0
; COMPUTE_PGM_RSRC3_GFX90A:ACCUM_OFFSET: 12
; COMPUTE_PGM_RSRC3_GFX90A:TG_SPLIT: 0
	.section	.text._ZN4vllm18act_and_mul_kernelIN3c108BFloat16E15__hip_bfloat162TnPFT_RKS4_EXadL_ZNS_11silu_kernelIS2_EES4_S6_EETnPFT0_RKSA_EXadL_ZNS_18packed_silu_kernelIS3_EES4_S6_EELb1ELb1ELb0ELb1EEEvPS4_PS5_if,"axG",@progbits,_ZN4vllm18act_and_mul_kernelIN3c108BFloat16E15__hip_bfloat162TnPFT_RKS4_EXadL_ZNS_11silu_kernelIS2_EES4_S6_EETnPFT0_RKSA_EXadL_ZNS_18packed_silu_kernelIS3_EES4_S6_EELb1ELb1ELb0ELb1EEEvPS4_PS5_if,comdat
	.protected	_ZN4vllm18act_and_mul_kernelIN3c108BFloat16E15__hip_bfloat162TnPFT_RKS4_EXadL_ZNS_11silu_kernelIS2_EES4_S6_EETnPFT0_RKSA_EXadL_ZNS_18packed_silu_kernelIS3_EES4_S6_EELb1ELb1ELb0ELb1EEEvPS4_PS5_if ; -- Begin function _ZN4vllm18act_and_mul_kernelIN3c108BFloat16E15__hip_bfloat162TnPFT_RKS4_EXadL_ZNS_11silu_kernelIS2_EES4_S6_EETnPFT0_RKSA_EXadL_ZNS_18packed_silu_kernelIS3_EES4_S6_EELb1ELb1ELb0ELb1EEEvPS4_PS5_if
	.globl	_ZN4vllm18act_and_mul_kernelIN3c108BFloat16E15__hip_bfloat162TnPFT_RKS4_EXadL_ZNS_11silu_kernelIS2_EES4_S6_EETnPFT0_RKSA_EXadL_ZNS_18packed_silu_kernelIS3_EES4_S6_EELb1ELb1ELb0ELb1EEEvPS4_PS5_if
	.p2align	8
	.type	_ZN4vllm18act_and_mul_kernelIN3c108BFloat16E15__hip_bfloat162TnPFT_RKS4_EXadL_ZNS_11silu_kernelIS2_EES4_S6_EETnPFT0_RKSA_EXadL_ZNS_18packed_silu_kernelIS3_EES4_S6_EELb1ELb1ELb0ELb1EEEvPS4_PS5_if,@function
_ZN4vllm18act_and_mul_kernelIN3c108BFloat16E15__hip_bfloat162TnPFT_RKS4_EXadL_ZNS_11silu_kernelIS2_EES4_S6_EETnPFT0_RKSA_EXadL_ZNS_18packed_silu_kernelIS3_EES4_S6_EELb1ELb1ELb0ELb1EEEvPS4_PS5_if: ; @_ZN4vllm18act_and_mul_kernelIN3c108BFloat16E15__hip_bfloat162TnPFT_RKS4_EXadL_ZNS_11silu_kernelIS2_EES4_S6_EETnPFT0_RKSA_EXadL_ZNS_18packed_silu_kernelIS3_EES4_S6_EELb1ELb1ELb0ELb1EEEvPS4_PS5_if
; %bb.0:
	s_add_u32 flat_scratch_lo, s6, s9
	s_load_dword s6, s[4:5], 0x10
	s_addc_u32 flat_scratch_hi, s7, 0
	s_add_u32 s0, s0, s9
	s_addc_u32 s1, s1, 0
	s_mov_b32 s32, 0
	s_waitcnt lgkmcnt(0)
	s_ashr_i32 s7, s6, 31
	s_lshr_b32 s7, s7, 28
	s_add_i32 s6, s6, s7
	s_ashr_i32 s6, s6, 4
	v_cmp_gt_i32_e32 vcc, s6, v0
	s_and_saveexec_b64 s[6:7], vcc
	s_cbranch_execz .LBB4_2
; %bb.1:
	s_add_u32 s8, s4, 24
	s_addc_u32 s9, s5, 0
	s_getpc_b64 s[4:5]
	s_add_u32 s4, s4, .str@rel32@lo+4
	s_addc_u32 s5, s5, .str@rel32@hi+12
	s_getpc_b64 s[6:7]
	s_add_u32 s6, s6, __PRETTY_FUNCTION__._ZN4vllm5ld256ERNS_7u32x8_tEPKS0_@rel32@lo+4
	s_addc_u32 s7, s7, __PRETTY_FUNCTION__._ZN4vllm5ld256ERNS_7u32x8_tEPKS0_@rel32@hi+12
	v_mov_b32_e32 v0, s4
	v_mov_b32_e32 v1, s5
	;; [unrolled: 1-line block ×5, first 2 shown]
	s_getpc_b64 s[10:11]
	s_add_u32 s10, s10, __assert_fail@rel32@lo+4
	s_addc_u32 s11, s11, __assert_fail@rel32@hi+12
	s_swappc_b64 s[30:31], s[10:11]
	; divergent unreachable
.LBB4_2:
	s_endpgm
	.section	.rodata,"a",@progbits
	.p2align	6, 0x0
	.amdhsa_kernel _ZN4vllm18act_and_mul_kernelIN3c108BFloat16E15__hip_bfloat162TnPFT_RKS4_EXadL_ZNS_11silu_kernelIS2_EES4_S6_EETnPFT0_RKSA_EXadL_ZNS_18packed_silu_kernelIS3_EES4_S6_EELb1ELb1ELb0ELb1EEEvPS4_PS5_if
		.amdhsa_group_segment_fixed_size 0
		.amdhsa_private_segment_fixed_size 64
		.amdhsa_kernarg_size 280
		.amdhsa_user_sgpr_count 8
		.amdhsa_user_sgpr_private_segment_buffer 1
		.amdhsa_user_sgpr_dispatch_ptr 0
		.amdhsa_user_sgpr_queue_ptr 0
		.amdhsa_user_sgpr_kernarg_segment_ptr 1
		.amdhsa_user_sgpr_dispatch_id 0
		.amdhsa_user_sgpr_flat_scratch_init 1
		.amdhsa_user_sgpr_kernarg_preload_length 0
		.amdhsa_user_sgpr_kernarg_preload_offset 0
		.amdhsa_user_sgpr_private_segment_size 0
		.amdhsa_uses_dynamic_stack 0
		.amdhsa_system_sgpr_private_segment_wavefront_offset 1
		.amdhsa_system_sgpr_workgroup_id_x 1
		.amdhsa_system_sgpr_workgroup_id_y 0
		.amdhsa_system_sgpr_workgroup_id_z 0
		.amdhsa_system_sgpr_workgroup_info 0
		.amdhsa_system_vgpr_workitem_id 0
		.amdhsa_next_free_vgpr 51
		.amdhsa_next_free_sgpr 34
		.amdhsa_accum_offset 52
		.amdhsa_reserve_vcc 1
		.amdhsa_reserve_flat_scratch 1
		.amdhsa_float_round_mode_32 0
		.amdhsa_float_round_mode_16_64 0
		.amdhsa_float_denorm_mode_32 3
		.amdhsa_float_denorm_mode_16_64 3
		.amdhsa_dx10_clamp 1
		.amdhsa_ieee_mode 1
		.amdhsa_fp16_overflow 0
		.amdhsa_tg_split 0
		.amdhsa_exception_fp_ieee_invalid_op 0
		.amdhsa_exception_fp_denorm_src 0
		.amdhsa_exception_fp_ieee_div_zero 0
		.amdhsa_exception_fp_ieee_overflow 0
		.amdhsa_exception_fp_ieee_underflow 0
		.amdhsa_exception_fp_ieee_inexact 0
		.amdhsa_exception_int_div_zero 0
	.end_amdhsa_kernel
	.section	.text._ZN4vllm18act_and_mul_kernelIN3c108BFloat16E15__hip_bfloat162TnPFT_RKS4_EXadL_ZNS_11silu_kernelIS2_EES4_S6_EETnPFT0_RKSA_EXadL_ZNS_18packed_silu_kernelIS3_EES4_S6_EELb1ELb1ELb0ELb1EEEvPS4_PS5_if,"axG",@progbits,_ZN4vllm18act_and_mul_kernelIN3c108BFloat16E15__hip_bfloat162TnPFT_RKS4_EXadL_ZNS_11silu_kernelIS2_EES4_S6_EETnPFT0_RKSA_EXadL_ZNS_18packed_silu_kernelIS3_EES4_S6_EELb1ELb1ELb0ELb1EEEvPS4_PS5_if,comdat
.Lfunc_end4:
	.size	_ZN4vllm18act_and_mul_kernelIN3c108BFloat16E15__hip_bfloat162TnPFT_RKS4_EXadL_ZNS_11silu_kernelIS2_EES4_S6_EETnPFT0_RKSA_EXadL_ZNS_18packed_silu_kernelIS3_EES4_S6_EELb1ELb1ELb0ELb1EEEvPS4_PS5_if, .Lfunc_end4-_ZN4vllm18act_and_mul_kernelIN3c108BFloat16E15__hip_bfloat162TnPFT_RKS4_EXadL_ZNS_11silu_kernelIS2_EES4_S6_EETnPFT0_RKSA_EXadL_ZNS_18packed_silu_kernelIS3_EES4_S6_EELb1ELb1ELb0ELb1EEEvPS4_PS5_if
                                        ; -- End function
	.section	.AMDGPU.csdata,"",@progbits
; Kernel info:
; codeLenInByte = 160
; NumSgprs: 40
; NumVgprs: 51
; NumAgprs: 0
; TotalNumVgprs: 51
; ScratchSize: 64
; MemoryBound: 0
; FloatMode: 240
; IeeeMode: 1
; LDSByteSize: 0 bytes/workgroup (compile time only)
; SGPRBlocks: 4
; VGPRBlocks: 6
; NumSGPRsForWavesPerEU: 40
; NumVGPRsForWavesPerEU: 51
; AccumOffset: 52
; Occupancy: 8
; WaveLimiterHint : 1
; COMPUTE_PGM_RSRC2:SCRATCH_EN: 1
; COMPUTE_PGM_RSRC2:USER_SGPR: 8
; COMPUTE_PGM_RSRC2:TRAP_HANDLER: 0
; COMPUTE_PGM_RSRC2:TGID_X_EN: 1
; COMPUTE_PGM_RSRC2:TGID_Y_EN: 0
; COMPUTE_PGM_RSRC2:TGID_Z_EN: 0
; COMPUTE_PGM_RSRC2:TIDIG_COMP_CNT: 0
; COMPUTE_PGM_RSRC3_GFX90A:ACCUM_OFFSET: 12
; COMPUTE_PGM_RSRC3_GFX90A:TG_SPLIT: 0
	.section	.text._ZN4vllm18act_and_mul_kernelIf15HIP_vector_typeIfLj2EETnPFT_RKS3_EXadL_ZNS_11silu_kernelIfEES3_S5_EETnPFT0_RKS9_EXadL_ZNS_18packed_silu_kernelIS2_EES3_S5_EELb1ELb1ELb0ELb0EEEvPS3_PS4_if,"axG",@progbits,_ZN4vllm18act_and_mul_kernelIf15HIP_vector_typeIfLj2EETnPFT_RKS3_EXadL_ZNS_11silu_kernelIfEES3_S5_EETnPFT0_RKS9_EXadL_ZNS_18packed_silu_kernelIS2_EES3_S5_EELb1ELb1ELb0ELb0EEEvPS3_PS4_if,comdat
	.protected	_ZN4vllm18act_and_mul_kernelIf15HIP_vector_typeIfLj2EETnPFT_RKS3_EXadL_ZNS_11silu_kernelIfEES3_S5_EETnPFT0_RKS9_EXadL_ZNS_18packed_silu_kernelIS2_EES3_S5_EELb1ELb1ELb0ELb0EEEvPS3_PS4_if ; -- Begin function _ZN4vllm18act_and_mul_kernelIf15HIP_vector_typeIfLj2EETnPFT_RKS3_EXadL_ZNS_11silu_kernelIfEES3_S5_EETnPFT0_RKS9_EXadL_ZNS_18packed_silu_kernelIS2_EES3_S5_EELb1ELb1ELb0ELb0EEEvPS3_PS4_if
	.globl	_ZN4vllm18act_and_mul_kernelIf15HIP_vector_typeIfLj2EETnPFT_RKS3_EXadL_ZNS_11silu_kernelIfEES3_S5_EETnPFT0_RKS9_EXadL_ZNS_18packed_silu_kernelIS2_EES3_S5_EELb1ELb1ELb0ELb0EEEvPS3_PS4_if
	.p2align	8
	.type	_ZN4vllm18act_and_mul_kernelIf15HIP_vector_typeIfLj2EETnPFT_RKS3_EXadL_ZNS_11silu_kernelIfEES3_S5_EETnPFT0_RKS9_EXadL_ZNS_18packed_silu_kernelIS2_EES3_S5_EELb1ELb1ELb0ELb0EEEvPS3_PS4_if,@function
_ZN4vllm18act_and_mul_kernelIf15HIP_vector_typeIfLj2EETnPFT_RKS3_EXadL_ZNS_11silu_kernelIfEES3_S5_EETnPFT0_RKS9_EXadL_ZNS_18packed_silu_kernelIS2_EES3_S5_EELb1ELb1ELb0ELb0EEEvPS3_PS4_if: ; @_ZN4vllm18act_and_mul_kernelIf15HIP_vector_typeIfLj2EETnPFT_RKS3_EXadL_ZNS_11silu_kernelIfEES3_S5_EETnPFT0_RKS9_EXadL_ZNS_18packed_silu_kernelIS2_EES3_S5_EELb1ELb1ELb0ELb0EEEvPS3_PS4_if
; %bb.0:
	s_load_dword s0, s[4:5], 0x10
	s_waitcnt lgkmcnt(0)
	s_ashr_i32 s1, s0, 31
	s_lshr_b32 s2, s1, 30
	s_add_i32 s2, s0, s2
	s_ashr_i32 s10, s2, 2
	v_cmp_gt_i32_e32 vcc, s10, v0
	s_and_saveexec_b64 s[2:3], vcc
	s_cbranch_execz .LBB5_3
; %bb.1:
	s_load_dwordx4 s[16:19], s[4:5], 0x0
	s_load_dword s7, s[4:5], 0x24
	s_mul_i32 s2, s6, s0
	s_lshl_b32 s4, s2, 1
	s_mov_b32 s5, 0
	s_mov_b32 s3, s5
	s_waitcnt lgkmcnt(0)
	s_and_b32 s11, s7, 0xffff
	s_lshl_b64 s[4:5], s[4:5], 2
	s_add_u32 s4, s18, s4
	v_lshlrev_b32_e32 v2, 4, v0
	s_addc_u32 s5, s19, s5
	v_mov_b32_e32 v3, s5
	v_add_co_u32_e32 v1, vcc, s4, v2
	v_addc_co_u32_e32 v6, vcc, 0, v3, vcc
	s_lshl_b64 s[0:1], s[0:1], 2
	s_lshl_b32 s12, s11, 4
	v_mov_b32_e32 v3, s1
	v_add_co_u32_e32 v7, vcc, s0, v1
	s_lshl_b64 s[0:1], s[2:3], 2
	s_add_u32 s0, s16, s0
	v_addc_co_u32_e32 v8, vcc, v6, v3, vcc
	s_addc_u32 s1, s17, s1
	v_mov_b32_e32 v3, s1
	v_add_co_u32_e32 v9, vcc, s0, v2
	v_addc_co_u32_e32 v10, vcc, 0, v3, vcc
	s_mov_b64 s[6:7], 0
	s_mov_b32 s13, 0xbfb8aa3b
	s_mov_b32 s14, 0x42ce8ed0
	;; [unrolled: 1-line block ×3, first 2 shown]
	v_mov_b32_e32 v11, 0x7f800000
	s_mov_b64 s[8:9], 0
.LBB5_2:                                ; =>This Inner Loop Header: Depth=1
	v_mov_b32_e32 v5, s9
	v_add_co_u32_e64 v20, s[2:3], s8, v1
	v_add_co_u32_e32 v2, vcc, s8, v7
	v_addc_co_u32_e64 v21, s[2:3], v6, v5, s[2:3]
	v_addc_co_u32_e32 v3, vcc, v8, v5, vcc
	global_load_dwordx4 v[12:15], v[20:21], off
	global_load_dwordx4 v[16:19], v[2:3], off
	v_add_co_u32_e64 v4, s[0:1], s8, v9
	v_add_u32_e32 v0, s11, v0
	s_add_u32 s8, s8, s12
	v_addc_co_u32_e64 v5, vcc, v10, v5, s[0:1]
	s_addc_u32 s9, s9, 0
	v_cmp_le_i32_e32 vcc, s10, v0
	s_or_b64 s[6:7], vcc, s[6:7]
	s_waitcnt vmcnt(1)
	v_mul_f32_e32 v2, 0xbfb8aa3b, v12
	v_mul_f32_e32 v3, 0xbfb8aa3b, v13
	v_fma_f32 v22, v12, s13, -v2
	v_rndne_f32_e32 v23, v2
	v_mul_f32_e32 v20, 0xbfb8aa3b, v14
	v_fma_f32 v24, v13, s13, -v3
	v_rndne_f32_e32 v25, v3
	v_fmac_f32_e32 v22, 0xb2a5705f, v12
	v_sub_f32_e32 v2, v2, v23
	v_mul_f32_e32 v21, 0xbfb8aa3b, v15
	v_fma_f32 v26, v14, s13, -v20
	v_rndne_f32_e32 v27, v20
	v_fmac_f32_e32 v24, 0xb2a5705f, v13
	v_sub_f32_e32 v3, v3, v25
	v_add_f32_e32 v2, v2, v22
	v_fma_f32 v28, v15, s13, -v21
	v_rndne_f32_e32 v29, v21
	v_cvt_i32_f32_e32 v23, v23
	v_fmac_f32_e32 v26, 0xb2a5705f, v14
	v_sub_f32_e32 v20, v20, v27
	v_add_f32_e32 v3, v3, v24
	v_exp_f32_e32 v2, v2
	v_cvt_i32_f32_e32 v25, v25
	v_fmac_f32_e32 v28, 0xb2a5705f, v15
	v_sub_f32_e32 v21, v21, v29
	v_add_f32_e32 v20, v20, v26
	v_exp_f32_e32 v3, v3
	v_cvt_i32_f32_e32 v27, v27
	v_add_f32_e32 v21, v21, v28
	v_exp_f32_e32 v20, v20
	v_cvt_i32_f32_e32 v29, v29
	v_exp_f32_e32 v21, v21
	v_ldexp_f32 v2, v2, v23
	v_cmp_nlt_f32_e64 s[4:5], s14, v12
	v_ldexp_f32 v3, v3, v25
	v_cmp_nlt_f32_e32 vcc, s14, v13
	v_cndmask_b32_e64 v2, 0, v2, s[4:5]
	v_cmp_ngt_f32_e64 s[4:5], s15, v12
	v_ldexp_f32 v20, v20, v27
	v_cmp_nlt_f32_e64 s[0:1], s14, v14
	v_cndmask_b32_e32 v3, 0, v3, vcc
	v_cmp_ngt_f32_e32 vcc, s15, v13
	v_cndmask_b32_e64 v2, v11, v2, s[4:5]
	v_ldexp_f32 v21, v21, v29
	v_cmp_nlt_f32_e64 s[2:3], s14, v15
	v_cndmask_b32_e64 v20, 0, v20, s[0:1]
	v_cmp_ngt_f32_e64 s[0:1], s15, v14
	v_cndmask_b32_e32 v3, v11, v3, vcc
	v_add_f32_e32 v2, 1.0, v2
	v_cndmask_b32_e64 v21, 0, v21, s[2:3]
	v_cmp_ngt_f32_e64 s[2:3], s15, v15
	v_cndmask_b32_e64 v20, v11, v20, s[0:1]
	v_add_f32_e32 v3, 1.0, v3
	v_div_scale_f32 v22, s[0:1], v2, v2, v12
	v_cndmask_b32_e64 v21, v11, v21, s[2:3]
	v_add_f32_e32 v20, 1.0, v20
	v_div_scale_f32 v24, s[0:1], v3, v3, v13
	v_rcp_f32_e32 v30, v22
	v_add_f32_e32 v21, 1.0, v21
	v_div_scale_f32 v26, s[2:3], v20, v20, v14
	v_rcp_f32_e32 v31, v24
	v_div_scale_f32 v28, s[4:5], v21, v21, v15
	v_rcp_f32_e32 v32, v26
	v_rcp_f32_e32 v33, v28
	v_fma_f32 v34, -v22, v30, 1.0
	v_div_scale_f32 v23, vcc, v12, v2, v12
	v_fma_f32 v35, -v24, v31, 1.0
	v_fmac_f32_e32 v30, v34, v30
	v_div_scale_f32 v25, s[0:1], v13, v3, v13
	v_fma_f32 v36, -v26, v32, 1.0
	v_fmac_f32_e32 v31, v35, v31
	v_mul_f32_e32 v34, v23, v30
	v_div_scale_f32 v27, s[2:3], v14, v20, v14
	v_fma_f32 v37, -v28, v33, 1.0
	v_fmac_f32_e32 v32, v36, v32
	v_mul_f32_e32 v35, v25, v31
	v_fma_f32 v38, -v22, v34, v23
	v_div_scale_f32 v29, s[4:5], v15, v21, v15
	v_fmac_f32_e32 v33, v37, v33
	v_mul_f32_e32 v36, v27, v32
	v_fma_f32 v39, -v24, v35, v25
	v_fmac_f32_e32 v34, v38, v30
	v_mul_f32_e32 v37, v29, v33
	v_fma_f32 v40, -v26, v36, v27
	v_fmac_f32_e32 v35, v39, v31
	v_fma_f32 v22, -v22, v34, v23
	v_fma_f32 v41, -v28, v37, v29
	v_fmac_f32_e32 v36, v40, v32
	v_fma_f32 v23, -v24, v35, v25
	v_div_fmas_f32 v22, v22, v30, v34
	s_mov_b64 vcc, s[0:1]
	v_fmac_f32_e32 v37, v41, v33
	v_fma_f32 v24, -v26, v36, v27
	v_div_fixup_f32 v2, v22, v2, v12
	v_div_fmas_f32 v12, v23, v31, v35
	s_mov_b64 vcc, s[2:3]
	v_fma_f32 v25, -v28, v37, v29
	v_div_fixup_f32 v3, v12, v3, v13
	s_waitcnt vmcnt(0)
	v_mul_f32_e32 v12, v2, v16
	v_div_fmas_f32 v2, v24, v32, v36
	s_mov_b64 vcc, s[4:5]
	v_mul_f32_e32 v13, v3, v17
	v_div_fmas_f32 v3, v25, v33, v37
	v_div_fixup_f32 v2, v2, v20, v14
	v_div_fixup_f32 v3, v3, v21, v15
	v_mul_f32_e32 v14, v2, v18
	v_mul_f32_e32 v15, v3, v19
	global_store_dwordx4 v[4:5], v[12:15], off
	s_andn2_b64 exec, exec, s[6:7]
	s_cbranch_execnz .LBB5_2
.LBB5_3:
	s_endpgm
	.section	.rodata,"a",@progbits
	.p2align	6, 0x0
	.amdhsa_kernel _ZN4vllm18act_and_mul_kernelIf15HIP_vector_typeIfLj2EETnPFT_RKS3_EXadL_ZNS_11silu_kernelIfEES3_S5_EETnPFT0_RKS9_EXadL_ZNS_18packed_silu_kernelIS2_EES3_S5_EELb1ELb1ELb0ELb0EEEvPS3_PS4_if
		.amdhsa_group_segment_fixed_size 0
		.amdhsa_private_segment_fixed_size 0
		.amdhsa_kernarg_size 280
		.amdhsa_user_sgpr_count 6
		.amdhsa_user_sgpr_private_segment_buffer 1
		.amdhsa_user_sgpr_dispatch_ptr 0
		.amdhsa_user_sgpr_queue_ptr 0
		.amdhsa_user_sgpr_kernarg_segment_ptr 1
		.amdhsa_user_sgpr_dispatch_id 0
		.amdhsa_user_sgpr_flat_scratch_init 0
		.amdhsa_user_sgpr_kernarg_preload_length 0
		.amdhsa_user_sgpr_kernarg_preload_offset 0
		.amdhsa_user_sgpr_private_segment_size 0
		.amdhsa_uses_dynamic_stack 0
		.amdhsa_system_sgpr_private_segment_wavefront_offset 0
		.amdhsa_system_sgpr_workgroup_id_x 1
		.amdhsa_system_sgpr_workgroup_id_y 0
		.amdhsa_system_sgpr_workgroup_id_z 0
		.amdhsa_system_sgpr_workgroup_info 0
		.amdhsa_system_vgpr_workitem_id 0
		.amdhsa_next_free_vgpr 42
		.amdhsa_next_free_sgpr 20
		.amdhsa_accum_offset 44
		.amdhsa_reserve_vcc 1
		.amdhsa_reserve_flat_scratch 0
		.amdhsa_float_round_mode_32 0
		.amdhsa_float_round_mode_16_64 0
		.amdhsa_float_denorm_mode_32 3
		.amdhsa_float_denorm_mode_16_64 3
		.amdhsa_dx10_clamp 1
		.amdhsa_ieee_mode 1
		.amdhsa_fp16_overflow 0
		.amdhsa_tg_split 0
		.amdhsa_exception_fp_ieee_invalid_op 0
		.amdhsa_exception_fp_denorm_src 0
		.amdhsa_exception_fp_ieee_div_zero 0
		.amdhsa_exception_fp_ieee_overflow 0
		.amdhsa_exception_fp_ieee_underflow 0
		.amdhsa_exception_fp_ieee_inexact 0
		.amdhsa_exception_int_div_zero 0
	.end_amdhsa_kernel
	.section	.text._ZN4vllm18act_and_mul_kernelIf15HIP_vector_typeIfLj2EETnPFT_RKS3_EXadL_ZNS_11silu_kernelIfEES3_S5_EETnPFT0_RKS9_EXadL_ZNS_18packed_silu_kernelIS2_EES3_S5_EELb1ELb1ELb0ELb0EEEvPS3_PS4_if,"axG",@progbits,_ZN4vllm18act_and_mul_kernelIf15HIP_vector_typeIfLj2EETnPFT_RKS3_EXadL_ZNS_11silu_kernelIfEES3_S5_EETnPFT0_RKS9_EXadL_ZNS_18packed_silu_kernelIS2_EES3_S5_EELb1ELb1ELb0ELb0EEEvPS3_PS4_if,comdat
.Lfunc_end5:
	.size	_ZN4vllm18act_and_mul_kernelIf15HIP_vector_typeIfLj2EETnPFT_RKS3_EXadL_ZNS_11silu_kernelIfEES3_S5_EETnPFT0_RKS9_EXadL_ZNS_18packed_silu_kernelIS2_EES3_S5_EELb1ELb1ELb0ELb0EEEvPS3_PS4_if, .Lfunc_end5-_ZN4vllm18act_and_mul_kernelIf15HIP_vector_typeIfLj2EETnPFT_RKS3_EXadL_ZNS_11silu_kernelIfEES3_S5_EETnPFT0_RKS9_EXadL_ZNS_18packed_silu_kernelIS2_EES3_S5_EELb1ELb1ELb0ELb0EEEvPS3_PS4_if
                                        ; -- End function
	.section	.AMDGPU.csdata,"",@progbits
; Kernel info:
; codeLenInByte = 956
; NumSgprs: 24
; NumVgprs: 42
; NumAgprs: 0
; TotalNumVgprs: 42
; ScratchSize: 0
; MemoryBound: 0
; FloatMode: 240
; IeeeMode: 1
; LDSByteSize: 0 bytes/workgroup (compile time only)
; SGPRBlocks: 2
; VGPRBlocks: 5
; NumSGPRsForWavesPerEU: 24
; NumVGPRsForWavesPerEU: 42
; AccumOffset: 44
; Occupancy: 8
; WaveLimiterHint : 0
; COMPUTE_PGM_RSRC2:SCRATCH_EN: 0
; COMPUTE_PGM_RSRC2:USER_SGPR: 6
; COMPUTE_PGM_RSRC2:TRAP_HANDLER: 0
; COMPUTE_PGM_RSRC2:TGID_X_EN: 1
; COMPUTE_PGM_RSRC2:TGID_Y_EN: 0
; COMPUTE_PGM_RSRC2:TGID_Z_EN: 0
; COMPUTE_PGM_RSRC2:TIDIG_COMP_CNT: 0
; COMPUTE_PGM_RSRC3_GFX90A:ACCUM_OFFSET: 10
; COMPUTE_PGM_RSRC3_GFX90A:TG_SPLIT: 0
	.section	.text._ZN4vllm18act_and_mul_kernelIN3c104HalfE7__half2TnPFT_RKS4_EXadL_ZNS_11silu_kernelIS2_EES4_S6_EETnPFT0_RKSA_EXadL_ZNS_18packed_silu_kernelIS3_EES4_S6_EELb1ELb1ELb0ELb0EEEvPS4_PS5_if,"axG",@progbits,_ZN4vllm18act_and_mul_kernelIN3c104HalfE7__half2TnPFT_RKS4_EXadL_ZNS_11silu_kernelIS2_EES4_S6_EETnPFT0_RKSA_EXadL_ZNS_18packed_silu_kernelIS3_EES4_S6_EELb1ELb1ELb0ELb0EEEvPS4_PS5_if,comdat
	.protected	_ZN4vllm18act_and_mul_kernelIN3c104HalfE7__half2TnPFT_RKS4_EXadL_ZNS_11silu_kernelIS2_EES4_S6_EETnPFT0_RKSA_EXadL_ZNS_18packed_silu_kernelIS3_EES4_S6_EELb1ELb1ELb0ELb0EEEvPS4_PS5_if ; -- Begin function _ZN4vllm18act_and_mul_kernelIN3c104HalfE7__half2TnPFT_RKS4_EXadL_ZNS_11silu_kernelIS2_EES4_S6_EETnPFT0_RKSA_EXadL_ZNS_18packed_silu_kernelIS3_EES4_S6_EELb1ELb1ELb0ELb0EEEvPS4_PS5_if
	.globl	_ZN4vllm18act_and_mul_kernelIN3c104HalfE7__half2TnPFT_RKS4_EXadL_ZNS_11silu_kernelIS2_EES4_S6_EETnPFT0_RKSA_EXadL_ZNS_18packed_silu_kernelIS3_EES4_S6_EELb1ELb1ELb0ELb0EEEvPS4_PS5_if
	.p2align	8
	.type	_ZN4vllm18act_and_mul_kernelIN3c104HalfE7__half2TnPFT_RKS4_EXadL_ZNS_11silu_kernelIS2_EES4_S6_EETnPFT0_RKSA_EXadL_ZNS_18packed_silu_kernelIS3_EES4_S6_EELb1ELb1ELb0ELb0EEEvPS4_PS5_if,@function
_ZN4vllm18act_and_mul_kernelIN3c104HalfE7__half2TnPFT_RKS4_EXadL_ZNS_11silu_kernelIS2_EES4_S6_EETnPFT0_RKSA_EXadL_ZNS_18packed_silu_kernelIS3_EES4_S6_EELb1ELb1ELb0ELb0EEEvPS4_PS5_if: ; @_ZN4vllm18act_and_mul_kernelIN3c104HalfE7__half2TnPFT_RKS4_EXadL_ZNS_11silu_kernelIS2_EES4_S6_EETnPFT0_RKSA_EXadL_ZNS_18packed_silu_kernelIS3_EES4_S6_EELb1ELb1ELb0ELb0EEEvPS4_PS5_if
; %bb.0:
	s_load_dword s0, s[4:5], 0x10
	s_waitcnt lgkmcnt(0)
	s_ashr_i32 s1, s0, 31
	s_lshr_b32 s2, s1, 29
	s_add_i32 s2, s0, s2
	s_ashr_i32 s20, s2, 3
	v_cmp_gt_i32_e32 vcc, s20, v0
	s_and_saveexec_b64 s[2:3], vcc
	s_cbranch_execz .LBB6_3
; %bb.1:
	s_load_dwordx4 s[8:11], s[4:5], 0x0
	s_load_dword s7, s[4:5], 0x24
	s_mul_i32 s2, s6, s0
	s_lshl_b32 s4, s2, 1
	s_mov_b32 s5, 0
	s_mov_b32 s3, s5
	s_waitcnt lgkmcnt(0)
	s_and_b32 s21, s7, 0xffff
	s_lshl_b64 s[4:5], s[4:5], 1
	s_add_u32 s4, s10, s4
	v_lshlrev_b32_e32 v2, 4, v0
	s_addc_u32 s5, s11, s5
	v_mov_b32_e32 v3, s5
	v_add_co_u32_e32 v1, vcc, s4, v2
	v_addc_co_u32_e32 v10, vcc, 0, v3, vcc
	s_lshl_b64 s[0:1], s[0:1], 1
	s_lshl_b32 s22, s21, 4
	v_mov_b32_e32 v3, s1
	v_add_co_u32_e32 v11, vcc, s0, v1
	s_lshl_b64 s[0:1], s[2:3], 1
	s_add_u32 s0, s8, s0
	v_addc_co_u32_e32 v12, vcc, v10, v3, vcc
	s_addc_u32 s1, s9, s1
	v_mov_b32_e32 v3, s1
	v_add_co_u32_e32 v13, vcc, s0, v2
	v_addc_co_u32_e32 v14, vcc, 0, v3, vcc
	s_mov_b64 s[16:17], 0
	s_mov_b32 s23, 0xbfb8aa3b
	s_mov_b32 s24, 0xb2a5705f
	;; [unrolled: 1-line block ×4, first 2 shown]
	v_mov_b32_e32 v15, 0x7f800000
	s_mov_b64 s[18:19], 0
.LBB6_2:                                ; =>This Inner Loop Header: Depth=1
	v_mov_b32_e32 v2, s19
	v_add_co_u32_e64 v20, s[2:3], s18, v1
	v_add_co_u32_e32 v6, vcc, s18, v11
	v_add_co_u32_e64 v8, s[0:1], s18, v13
	v_addc_co_u32_e64 v21, s[2:3], v10, v2, s[2:3]
	v_addc_co_u32_e32 v7, vcc, v12, v2, vcc
	v_addc_co_u32_e64 v9, vcc, v14, v2, s[0:1]
	global_load_dwordx4 v[16:19], v[20:21], off
	global_load_dwordx4 v[2:5], v[6:7], off
	v_add_u32_e32 v0, s21, v0
	s_add_u32 s18, s18, s22
	s_addc_u32 s19, s19, 0
	v_cmp_le_i32_e64 s[14:15], s20, v0
	s_or_b64 s[16:17], s[14:15], s[16:17]
	s_waitcnt vmcnt(1)
	v_cvt_f32_f16_sdwa v22, v16 dst_sel:DWORD dst_unused:UNUSED_PAD src0_sel:WORD_1
	v_cvt_f32_f16_e32 v23, v16
	v_cvt_f32_f16_sdwa v24, v17 dst_sel:DWORD dst_unused:UNUSED_PAD src0_sel:WORD_1
	v_cvt_f32_f16_e32 v25, v17
	v_cvt_f32_f16_e32 v27, v18
	v_cvt_f32_f16_sdwa v28, v19 dst_sel:DWORD dst_unused:UNUSED_PAD src0_sel:WORD_1
	v_cvt_f32_f16_e32 v29, v19
	v_cvt_f32_f16_sdwa v26, v18 dst_sel:DWORD dst_unused:UNUSED_PAD src0_sel:WORD_1
	v_mul_f32_e32 v6, 0xbfb8aa3b, v23
	v_mul_f32_e32 v7, 0xbfb8aa3b, v22
	;; [unrolled: 1-line block ×7, first 2 shown]
	v_fma_mix_f32 v34, v16, s23, -v6 op_sel_hi:[1,0,0]
	v_rndne_f32_e32 v35, v6
	v_fma_mix_f32 v36, v16, s23, -v7 op_sel:[1,0,0] op_sel_hi:[1,0,0]
	v_rndne_f32_e32 v37, v7
	v_mul_f32_e32 v31, 0xbfb8aa3b, v26
	v_fma_mix_f32 v38, v17, s23, -v20 op_sel_hi:[1,0,0]
	v_rndne_f32_e32 v39, v20
	v_fma_mix_f32 v40, v17, s23, -v21 op_sel:[1,0,0] op_sel_hi:[1,0,0]
	v_rndne_f32_e32 v41, v21
	v_fma_mix_f32 v42, v18, s23, -v30 op_sel_hi:[1,0,0]
	v_rndne_f32_e32 v43, v30
	v_fma_mix_f32 v46, v19, s23, -v32 op_sel_hi:[1,0,0]
	v_rndne_f32_e32 v47, v32
	v_fma_mix_f32 v48, v19, s23, -v33 op_sel:[1,0,0] op_sel_hi:[1,0,0]
	v_rndne_f32_e32 v49, v33
	v_fma_mix_f32 v34, v16, s24, v34 op_sel_hi:[1,0,0]
	v_sub_f32_e32 v6, v6, v35
	v_fma_mix_f32 v16, v16, s24, v36 op_sel:[1,0,0] op_sel_hi:[1,0,0]
	v_sub_f32_e32 v7, v7, v37
	v_fma_mix_f32 v44, v18, s23, -v31 op_sel:[1,0,0] op_sel_hi:[1,0,0]
	v_rndne_f32_e32 v45, v31
	v_cvt_i32_f32_e32 v36, v37
	v_fma_mix_f32 v37, v17, s24, v38 op_sel_hi:[1,0,0]
	v_sub_f32_e32 v20, v20, v39
	v_cvt_i32_f32_e32 v38, v39
	v_fma_mix_f32 v17, v17, s24, v40 op_sel:[1,0,0] op_sel_hi:[1,0,0]
	v_sub_f32_e32 v21, v21, v41
	v_cvt_i32_f32_e32 v39, v41
	v_fma_mix_f32 v40, v18, s24, v42 op_sel_hi:[1,0,0]
	v_sub_f32_e32 v30, v30, v43
	v_cvt_i32_f32_e32 v41, v43
	v_fma_mix_f32 v43, v19, s24, v46 op_sel_hi:[1,0,0]
	v_sub_f32_e32 v32, v32, v47
	v_fma_mix_f32 v19, v19, s24, v48 op_sel:[1,0,0] op_sel_hi:[1,0,0]
	v_sub_f32_e32 v33, v33, v49
	v_add_f32_e32 v6, v6, v34
	v_add_f32_e32 v7, v7, v16
	v_cvt_i32_f32_e32 v35, v35
	v_fma_mix_f32 v18, v18, s24, v44 op_sel:[1,0,0] op_sel_hi:[1,0,0]
	v_sub_f32_e32 v31, v31, v45
	v_add_f32_e32 v16, v20, v37
	v_add_f32_e32 v17, v21, v17
	;; [unrolled: 1-line block ×5, first 2 shown]
	v_exp_f32_e32 v6, v6
	v_exp_f32_e32 v7, v7
	v_cvt_i32_f32_e32 v42, v45
	v_cvt_i32_f32_e32 v44, v47
	;; [unrolled: 1-line block ×3, first 2 shown]
	v_add_f32_e32 v18, v31, v18
	v_exp_f32_e32 v20, v20
	v_exp_f32_e32 v21, v21
	;; [unrolled: 1-line block ×6, first 2 shown]
	v_ldexp_f32 v6, v6, v35
	v_ldexp_f32 v7, v7, v36
	v_cmp_nlt_f32_e32 vcc, s25, v22
	v_cmp_nlt_f32_e64 s[12:13], s25, v23
	v_ldexp_f32 v20, v20, v41
	v_cmp_nlt_f32_e64 s[4:5], s25, v27
	v_ldexp_f32 v21, v21, v44
	;; [unrolled: 2-line block ×3, first 2 shown]
	v_cmp_nlt_f32_e64 s[10:11], s25, v28
	v_cndmask_b32_e64 v6, 0, v6, s[12:13]
	v_cndmask_b32_e32 v7, 0, v7, vcc
	v_cmp_ngt_f32_e32 vcc, s26, v22
	v_cmp_ngt_f32_e64 s[12:13], s26, v23
	v_ldexp_f32 v16, v16, v38
	v_cmp_nlt_f32_e64 s[0:1], s25, v25
	v_ldexp_f32 v17, v17, v39
	v_cmp_nlt_f32_e64 s[2:3], s25, v24
	;; [unrolled: 2-line block ×3, first 2 shown]
	v_cndmask_b32_e64 v20, 0, v20, s[4:5]
	v_cmp_ngt_f32_e64 s[4:5], s26, v27
	v_cndmask_b32_e64 v21, 0, v21, s[8:9]
	v_cmp_ngt_f32_e64 s[8:9], s26, v29
	v_cndmask_b32_e64 v31, 0, v19, s[10:11]
	v_cmp_ngt_f32_e64 s[10:11], s26, v28
	v_cndmask_b32_e64 v6, v15, v6, s[12:13]
	v_cndmask_b32_e32 v7, v15, v7, vcc
	v_cndmask_b32_e64 v16, 0, v16, s[0:1]
	v_cmp_ngt_f32_e64 s[0:1], s26, v25
	v_cndmask_b32_e64 v17, 0, v17, s[2:3]
	v_cmp_ngt_f32_e64 s[2:3], s26, v24
	;; [unrolled: 2-line block ×3, first 2 shown]
	v_cndmask_b32_e64 v18, v15, v20, s[4:5]
	v_cndmask_b32_e64 v20, v15, v21, s[8:9]
	;; [unrolled: 1-line block ×3, first 2 shown]
	v_pk_add_f32 v[6:7], v[6:7], 1.0 op_sel_hi:[1,0]
	v_cndmask_b32_e64 v16, v15, v16, s[0:1]
	v_cndmask_b32_e64 v17, v15, v17, s[2:3]
	;; [unrolled: 1-line block ×3, first 2 shown]
	v_pk_add_f32 v[20:21], v[20:21], 1.0 op_sel_hi:[1,0]
	v_div_scale_f32 v30, s[0:1], v6, v6, v23
	v_pk_add_f32 v[16:17], v[16:17], 1.0 op_sel_hi:[1,0]
	v_div_scale_f32 v32, s[0:1], v7, v7, v22
	v_div_scale_f32 v44, s[12:13], v21, v21, v28
	v_rcp_f32_e32 v45, v30
	v_div_scale_f32 v34, s[2:3], v16, v16, v25
	v_div_scale_f32 v42, s[10:11], v20, v20, v29
	v_rcp_f32_e32 v46, v32
	v_rcp_f32_e32 v52, v44
	v_pk_add_f32 v[18:19], v[18:19], 1.0 op_sel_hi:[1,0]
	v_div_scale_f32 v36, s[4:5], v17, v17, v24
	v_rcp_f32_e32 v47, v34
	v_rcp_f32_e32 v51, v42
	v_div_scale_f32 v38, s[6:7], v18, v18, v27
	v_rcp_f32_e32 v48, v36
	v_div_scale_f32 v40, s[8:9], v19, v19, v26
	v_rcp_f32_e32 v49, v38
	v_fma_f32 v53, -v30, v45, 1.0
	v_div_scale_f32 v31, vcc, v23, v6, v23
	v_rcp_f32_e32 v50, v40
	v_fma_f32 v54, -v32, v46, 1.0
	v_fmac_f32_e32 v45, v53, v45
	v_fma_f32 v53, -v44, v52, 1.0
	v_div_scale_f32 v33, s[0:1], v22, v7, v22
	v_fma_f32 v55, -v34, v47, 1.0
	v_fma_f32 v59, -v42, v51, 1.0
	v_fmac_f32_e32 v46, v54, v46
	v_fmac_f32_e32 v52, v53, v52
	v_mul_f32_e32 v53, v31, v45
	v_div_scale_f32 v35, s[2:3], v25, v16, v25
	v_fma_f32 v56, -v36, v48, 1.0
	v_fmac_f32_e32 v47, v55, v47
	v_fmac_f32_e32 v51, v59, v51
	v_mul_f32_e32 v54, v33, v46
	v_fma_f32 v59, -v30, v53, v31
	v_div_scale_f32 v37, s[4:5], v24, v17, v24
	v_fma_f32 v57, -v38, v49, 1.0
	v_fmac_f32_e32 v48, v56, v48
	v_mul_f32_e32 v55, v35, v47
	v_fmac_f32_e32 v53, v59, v45
	v_fma_f32 v59, -v32, v54, v33
	v_div_scale_f32 v39, s[6:7], v27, v18, v27
	v_fma_f32 v58, -v40, v50, 1.0
	v_fmac_f32_e32 v49, v57, v49
	v_mul_f32_e32 v56, v37, v48
	v_fmac_f32_e32 v54, v59, v46
	v_fma_f32 v59, -v34, v55, v35
	v_div_scale_f32 v41, s[8:9], v26, v19, v26
	v_fmac_f32_e32 v50, v58, v50
	v_mul_f32_e32 v57, v39, v49
	v_fmac_f32_e32 v55, v59, v47
	v_fma_f32 v59, -v36, v56, v37
	v_mul_f32_e32 v58, v41, v50
	v_fmac_f32_e32 v56, v59, v48
	v_fma_f32 v59, -v38, v57, v39
	v_div_scale_f32 v43, s[10:11], v29, v20, v29
	v_fmac_f32_e32 v57, v59, v49
	v_fma_f32 v59, -v40, v58, v41
	v_fma_f32 v30, -v30, v53, v31
	v_fmac_f32_e32 v58, v59, v50
	v_mul_f32_e32 v59, v43, v51
	v_fma_f32 v31, -v32, v54, v33
	v_div_fmas_f32 v30, v30, v45, v53
	s_mov_b64 vcc, s[0:1]
	v_fma_f32 v60, -v42, v59, v43
	v_fma_f32 v32, -v34, v55, v35
	v_div_fixup_f32 v6, v30, v6, v23
	v_div_fmas_f32 v23, v31, v46, v54
	s_mov_b64 vcc, s[2:3]
	v_fmac_f32_e32 v59, v60, v51
	v_div_scale_f32 v60, s[12:13], v28, v21, v28
	v_fma_f32 v33, -v36, v56, v37
	v_div_fixup_f32 v7, v23, v7, v22
	v_div_fmas_f32 v22, v32, v47, v55
	s_mov_b64 vcc, s[4:5]
	v_mul_f32_e32 v61, v60, v52
	v_fma_f32 v34, -v38, v57, v39
	v_cvt_f16_f32_e32 v6, v6
	v_cvt_f16_f32_e32 v7, v7
	v_div_fixup_f32 v16, v22, v16, v25
	v_div_fmas_f32 v22, v33, v48, v56
	s_mov_b64 vcc, s[6:7]
	v_fma_f32 v62, -v44, v61, v60
	v_fma_f32 v35, -v40, v58, v41
	v_div_fixup_f32 v17, v22, v17, v24
	v_div_fmas_f32 v22, v34, v49, v57
	s_mov_b64 vcc, s[8:9]
	v_fmac_f32_e32 v61, v62, v52
	v_fma_f32 v36, -v42, v59, v43
	v_div_fixup_f32 v18, v22, v18, v27
	v_div_fmas_f32 v22, v35, v50, v58
	s_mov_b64 vcc, s[10:11]
	v_fma_f32 v37, -v44, v61, v60
	v_div_fixup_f32 v19, v22, v19, v26
	v_div_fmas_f32 v22, v36, v51, v59
	s_mov_b64 vcc, s[12:13]
	v_pack_b32_f16 v6, v6, v7
	v_cvt_f16_f32_e32 v7, v19
	v_div_fixup_f32 v19, v22, v20, v29
	v_div_fmas_f32 v20, v37, v52, v61
	s_waitcnt vmcnt(0)
	v_pk_mul_f16 v2, v6, v2
	v_div_fixup_f32 v6, v20, v21, v28
	v_cvt_f16_f32_e32 v16, v16
	v_cvt_f16_f32_e32 v17, v17
	;; [unrolled: 1-line block ×5, first 2 shown]
	v_pack_b32_f16 v16, v16, v17
	v_pack_b32_f16 v7, v18, v7
	v_pk_mul_f16 v3, v16, v3
	v_pack_b32_f16 v6, v19, v6
	v_pk_mul_f16 v4, v7, v4
	v_pk_mul_f16 v5, v6, v5
	global_store_dwordx4 v[8:9], v[2:5], off
	s_andn2_b64 exec, exec, s[16:17]
	s_cbranch_execnz .LBB6_2
.LBB6_3:
	s_endpgm
	.section	.rodata,"a",@progbits
	.p2align	6, 0x0
	.amdhsa_kernel _ZN4vllm18act_and_mul_kernelIN3c104HalfE7__half2TnPFT_RKS4_EXadL_ZNS_11silu_kernelIS2_EES4_S6_EETnPFT0_RKSA_EXadL_ZNS_18packed_silu_kernelIS3_EES4_S6_EELb1ELb1ELb0ELb0EEEvPS4_PS5_if
		.amdhsa_group_segment_fixed_size 0
		.amdhsa_private_segment_fixed_size 0
		.amdhsa_kernarg_size 280
		.amdhsa_user_sgpr_count 6
		.amdhsa_user_sgpr_private_segment_buffer 1
		.amdhsa_user_sgpr_dispatch_ptr 0
		.amdhsa_user_sgpr_queue_ptr 0
		.amdhsa_user_sgpr_kernarg_segment_ptr 1
		.amdhsa_user_sgpr_dispatch_id 0
		.amdhsa_user_sgpr_flat_scratch_init 0
		.amdhsa_user_sgpr_kernarg_preload_length 0
		.amdhsa_user_sgpr_kernarg_preload_offset 0
		.amdhsa_user_sgpr_private_segment_size 0
		.amdhsa_uses_dynamic_stack 0
		.amdhsa_system_sgpr_private_segment_wavefront_offset 0
		.amdhsa_system_sgpr_workgroup_id_x 1
		.amdhsa_system_sgpr_workgroup_id_y 0
		.amdhsa_system_sgpr_workgroup_id_z 0
		.amdhsa_system_sgpr_workgroup_info 0
		.amdhsa_system_vgpr_workitem_id 0
		.amdhsa_next_free_vgpr 63
		.amdhsa_next_free_sgpr 27
		.amdhsa_accum_offset 64
		.amdhsa_reserve_vcc 1
		.amdhsa_reserve_flat_scratch 0
		.amdhsa_float_round_mode_32 0
		.amdhsa_float_round_mode_16_64 0
		.amdhsa_float_denorm_mode_32 3
		.amdhsa_float_denorm_mode_16_64 3
		.amdhsa_dx10_clamp 1
		.amdhsa_ieee_mode 1
		.amdhsa_fp16_overflow 0
		.amdhsa_tg_split 0
		.amdhsa_exception_fp_ieee_invalid_op 0
		.amdhsa_exception_fp_denorm_src 0
		.amdhsa_exception_fp_ieee_div_zero 0
		.amdhsa_exception_fp_ieee_overflow 0
		.amdhsa_exception_fp_ieee_underflow 0
		.amdhsa_exception_fp_ieee_inexact 0
		.amdhsa_exception_int_div_zero 0
	.end_amdhsa_kernel
	.section	.text._ZN4vllm18act_and_mul_kernelIN3c104HalfE7__half2TnPFT_RKS4_EXadL_ZNS_11silu_kernelIS2_EES4_S6_EETnPFT0_RKSA_EXadL_ZNS_18packed_silu_kernelIS3_EES4_S6_EELb1ELb1ELb0ELb0EEEvPS4_PS5_if,"axG",@progbits,_ZN4vllm18act_and_mul_kernelIN3c104HalfE7__half2TnPFT_RKS4_EXadL_ZNS_11silu_kernelIS2_EES4_S6_EETnPFT0_RKSA_EXadL_ZNS_18packed_silu_kernelIS3_EES4_S6_EELb1ELb1ELb0ELb0EEEvPS4_PS5_if,comdat
.Lfunc_end6:
	.size	_ZN4vllm18act_and_mul_kernelIN3c104HalfE7__half2TnPFT_RKS4_EXadL_ZNS_11silu_kernelIS2_EES4_S6_EETnPFT0_RKSA_EXadL_ZNS_18packed_silu_kernelIS3_EES4_S6_EELb1ELb1ELb0ELb0EEEvPS4_PS5_if, .Lfunc_end6-_ZN4vllm18act_and_mul_kernelIN3c104HalfE7__half2TnPFT_RKS4_EXadL_ZNS_11silu_kernelIS2_EES4_S6_EETnPFT0_RKSA_EXadL_ZNS_18packed_silu_kernelIS3_EES4_S6_EELb1ELb1ELb0ELb0EEEvPS4_PS5_if
                                        ; -- End function
	.section	.AMDGPU.csdata,"",@progbits
; Kernel info:
; codeLenInByte = 1752
; NumSgprs: 31
; NumVgprs: 63
; NumAgprs: 0
; TotalNumVgprs: 63
; ScratchSize: 0
; MemoryBound: 0
; FloatMode: 240
; IeeeMode: 1
; LDSByteSize: 0 bytes/workgroup (compile time only)
; SGPRBlocks: 3
; VGPRBlocks: 7
; NumSGPRsForWavesPerEU: 31
; NumVGPRsForWavesPerEU: 63
; AccumOffset: 64
; Occupancy: 8
; WaveLimiterHint : 0
; COMPUTE_PGM_RSRC2:SCRATCH_EN: 0
; COMPUTE_PGM_RSRC2:USER_SGPR: 6
; COMPUTE_PGM_RSRC2:TRAP_HANDLER: 0
; COMPUTE_PGM_RSRC2:TGID_X_EN: 1
; COMPUTE_PGM_RSRC2:TGID_Y_EN: 0
; COMPUTE_PGM_RSRC2:TGID_Z_EN: 0
; COMPUTE_PGM_RSRC2:TIDIG_COMP_CNT: 0
; COMPUTE_PGM_RSRC3_GFX90A:ACCUM_OFFSET: 15
; COMPUTE_PGM_RSRC3_GFX90A:TG_SPLIT: 0
	.section	.text._ZN4vllm18act_and_mul_kernelIN3c108BFloat16E15__hip_bfloat162TnPFT_RKS4_EXadL_ZNS_11silu_kernelIS2_EES4_S6_EETnPFT0_RKSA_EXadL_ZNS_18packed_silu_kernelIS3_EES4_S6_EELb1ELb1ELb0ELb0EEEvPS4_PS5_if,"axG",@progbits,_ZN4vllm18act_and_mul_kernelIN3c108BFloat16E15__hip_bfloat162TnPFT_RKS4_EXadL_ZNS_11silu_kernelIS2_EES4_S6_EETnPFT0_RKSA_EXadL_ZNS_18packed_silu_kernelIS3_EES4_S6_EELb1ELb1ELb0ELb0EEEvPS4_PS5_if,comdat
	.protected	_ZN4vllm18act_and_mul_kernelIN3c108BFloat16E15__hip_bfloat162TnPFT_RKS4_EXadL_ZNS_11silu_kernelIS2_EES4_S6_EETnPFT0_RKSA_EXadL_ZNS_18packed_silu_kernelIS3_EES4_S6_EELb1ELb1ELb0ELb0EEEvPS4_PS5_if ; -- Begin function _ZN4vllm18act_and_mul_kernelIN3c108BFloat16E15__hip_bfloat162TnPFT_RKS4_EXadL_ZNS_11silu_kernelIS2_EES4_S6_EETnPFT0_RKSA_EXadL_ZNS_18packed_silu_kernelIS3_EES4_S6_EELb1ELb1ELb0ELb0EEEvPS4_PS5_if
	.globl	_ZN4vllm18act_and_mul_kernelIN3c108BFloat16E15__hip_bfloat162TnPFT_RKS4_EXadL_ZNS_11silu_kernelIS2_EES4_S6_EETnPFT0_RKSA_EXadL_ZNS_18packed_silu_kernelIS3_EES4_S6_EELb1ELb1ELb0ELb0EEEvPS4_PS5_if
	.p2align	8
	.type	_ZN4vllm18act_and_mul_kernelIN3c108BFloat16E15__hip_bfloat162TnPFT_RKS4_EXadL_ZNS_11silu_kernelIS2_EES4_S6_EETnPFT0_RKSA_EXadL_ZNS_18packed_silu_kernelIS3_EES4_S6_EELb1ELb1ELb0ELb0EEEvPS4_PS5_if,@function
_ZN4vllm18act_and_mul_kernelIN3c108BFloat16E15__hip_bfloat162TnPFT_RKS4_EXadL_ZNS_11silu_kernelIS2_EES4_S6_EETnPFT0_RKSA_EXadL_ZNS_18packed_silu_kernelIS3_EES4_S6_EELb1ELb1ELb0ELb0EEEvPS4_PS5_if: ; @_ZN4vllm18act_and_mul_kernelIN3c108BFloat16E15__hip_bfloat162TnPFT_RKS4_EXadL_ZNS_11silu_kernelIS2_EES4_S6_EETnPFT0_RKSA_EXadL_ZNS_18packed_silu_kernelIS3_EES4_S6_EELb1ELb1ELb0ELb0EEEvPS4_PS5_if
; %bb.0:
	s_load_dword s0, s[4:5], 0x10
	s_waitcnt lgkmcnt(0)
	s_ashr_i32 s1, s0, 31
	s_lshr_b32 s2, s1, 29
	s_add_i32 s2, s0, s2
	s_ashr_i32 s7, s2, 3
	v_cmp_gt_i32_e32 vcc, s7, v0
	s_and_saveexec_b64 s[2:3], vcc
	s_cbranch_execz .LBB7_67
; %bb.1:
	s_load_dwordx4 s[12:15], s[4:5], 0x0
	s_load_dword s8, s[4:5], 0x24
	s_mul_i32 s2, s6, s0
	s_lshl_b32 s4, s2, 1
	s_mov_b32 s5, 0
	s_mov_b32 s3, s5
	s_waitcnt lgkmcnt(0)
	s_and_b32 s6, s8, 0xffff
	s_lshl_b64 s[4:5], s[4:5], 1
	s_add_u32 s4, s14, s4
	v_lshlrev_b32_e32 v2, 4, v0
	s_addc_u32 s5, s15, s5
	v_mov_b32_e32 v3, s5
	v_add_co_u32_e32 v1, vcc, s4, v2
	v_addc_co_u32_e32 v10, vcc, 0, v3, vcc
	s_lshl_b64 s[0:1], s[0:1], 1
	s_lshl_b32 s8, s6, 4
	v_mov_b32_e32 v3, s1
	v_add_co_u32_e32 v11, vcc, s0, v1
	s_lshl_b64 s[0:1], s[2:3], 1
	s_add_u32 s0, s12, s0
	v_addc_co_u32_e32 v12, vcc, v10, v3, vcc
	s_addc_u32 s1, s13, s1
	v_mov_b32_e32 v3, s1
	v_add_co_u32_e32 v13, vcc, s0, v2
	v_addc_co_u32_e32 v14, vcc, 0, v3, vcc
	s_mov_b64 s[0:1], 0
	s_mov_b32 s9, 0xbfb8aa3b
	s_mov_b32 s10, 0x42ce8ed0
	;; [unrolled: 1-line block ×4, first 2 shown]
	v_mov_b32_e32 v15, 0x7f800000
	s_movk_i32 s13, 0x7fff
	s_mov_b32 s14, 0x7060302
	v_mov_b32_e32 v16, 0
	s_mov_b64 s[2:3], 0
	s_branch .LBB7_3
.LBB7_2:                                ;   in Loop: Header=BB7_3 Depth=1
	s_or_b64 exec, exec, s[4:5]
	v_perm_b32 v3, v3, v7, s14
	v_perm_b32 v2, v2, v6, s14
	v_mov_b32_e32 v7, s3
	v_add_co_u32_e32 v6, vcc, s2, v13
	v_addc_co_u32_e32 v7, vcc, v14, v7, vcc
	v_add_u32_e32 v0, s6, v0
	s_add_u32 s2, s2, s8
	s_addc_u32 s3, s3, 0
	v_cmp_le_i32_e32 vcc, s7, v0
	v_perm_b32 v5, v9, v17, s14
	v_perm_b32 v4, v4, v8, s14
	s_or_b64 s[0:1], vcc, s[0:1]
	global_store_dwordx4 v[6:7], v[2:5], off
	s_andn2_b64 exec, exec, s[0:1]
	s_cbranch_execz .LBB7_67
.LBB7_3:                                ; =>This Inner Loop Header: Depth=1
	v_mov_b32_e32 v4, s3
	v_add_co_u32_e32 v2, vcc, s2, v1
	v_addc_co_u32_e32 v3, vcc, v10, v4, vcc
	global_load_dwordx4 v[6:9], v[2:3], off
	v_add_co_u32_e32 v2, vcc, s2, v11
	v_addc_co_u32_e32 v3, vcc, v12, v4, vcc
	global_load_dwordx4 v[2:5], v[2:3], off
	s_waitcnt vmcnt(1)
	v_lshlrev_b32_e32 v17, 16, v6
	v_mul_f32_e32 v18, 0xbfb8aa3b, v17
	v_fma_f32 v19, v17, s9, -v18
	v_rndne_f32_e32 v20, v18
	v_fmac_f32_e32 v19, 0xb2a5705f, v17
	v_sub_f32_e32 v18, v18, v20
	v_add_f32_e32 v18, v18, v19
	v_cvt_i32_f32_e32 v20, v20
	v_exp_f32_e32 v18, v18
	v_cmp_nlt_f32_e32 vcc, s10, v17
	v_ldexp_f32 v18, v18, v20
	v_cndmask_b32_e32 v18, 0, v18, vcc
	v_cmp_ngt_f32_e32 vcc, s11, v17
	v_cndmask_b32_e32 v18, v15, v18, vcc
	v_add_f32_e32 v18, 1.0, v18
	v_div_scale_f32 v19, s[4:5], v18, v18, v17
	v_rcp_f32_e32 v20, v19
	v_div_scale_f32 v21, vcc, v17, v18, v17
	v_fma_f32 v22, -v19, v20, 1.0
	v_fmac_f32_e32 v20, v22, v20
	v_mul_f32_e32 v22, v21, v20
	v_fma_f32 v23, -v19, v22, v21
	v_fmac_f32_e32 v22, v23, v20
	v_fma_f32 v19, -v19, v22, v21
	v_div_fmas_f32 v19, v19, v20, v22
	v_div_fixup_f32 v18, v19, v18, v17
	v_and_b32_e32 v17, 0x7f800000, v18
	v_cmp_ne_u32_e32 vcc, s12, v17
                                        ; implicit-def: $vgpr17
	s_and_saveexec_b64 s[4:5], vcc
	s_xor_b64 s[4:5], exec, s[4:5]
; %bb.4:                                ;   in Loop: Header=BB7_3 Depth=1
	v_bfe_u32 v17, v18, 16, 1
	v_add3_u32 v17, v18, v17, s13
                                        ; implicit-def: $vgpr18
; %bb.5:                                ;   in Loop: Header=BB7_3 Depth=1
	s_andn2_saveexec_b64 s[4:5], s[4:5]
; %bb.6:                                ;   in Loop: Header=BB7_3 Depth=1
	v_or_b32_e32 v17, 0x10000, v18
	v_cmp_eq_u32_sdwa vcc, v18, v16 src0_sel:WORD_0 src1_sel:DWORD
	v_cndmask_b32_e32 v17, v17, v18, vcc
; %bb.7:                                ;   in Loop: Header=BB7_3 Depth=1
	s_or_b64 exec, exec, s[4:5]
	v_and_b32_e32 v6, 0xffff0000, v6
	v_mul_f32_e32 v18, 0xbfb8aa3b, v6
	v_fma_f32 v19, v6, s9, -v18
	v_rndne_f32_e32 v20, v18
	v_fmac_f32_e32 v19, 0xb2a5705f, v6
	v_sub_f32_e32 v18, v18, v20
	v_add_f32_e32 v18, v18, v19
	v_cvt_i32_f32_e32 v19, v20
	v_exp_f32_e32 v18, v18
	v_cmp_nlt_f32_e32 vcc, s10, v6
	v_ldexp_f32 v18, v18, v19
	v_cndmask_b32_e32 v18, 0, v18, vcc
	v_cmp_ngt_f32_e32 vcc, s11, v6
	v_cndmask_b32_e32 v18, v15, v18, vcc
	v_add_f32_e32 v18, 1.0, v18
	v_div_scale_f32 v19, s[4:5], v18, v18, v6
	v_rcp_f32_e32 v20, v19
	v_fma_f32 v21, -v19, v20, 1.0
	v_fmac_f32_e32 v20, v21, v20
	v_div_scale_f32 v21, vcc, v6, v18, v6
	v_mul_f32_e32 v22, v21, v20
	v_fma_f32 v23, -v19, v22, v21
	v_fmac_f32_e32 v22, v23, v20
	v_fma_f32 v19, -v19, v22, v21
	v_div_fmas_f32 v19, v19, v20, v22
	v_div_fixup_f32 v6, v19, v18, v6
	v_and_b32_e32 v18, 0x7f800000, v6
	v_cmp_ne_u32_e32 vcc, s12, v18
                                        ; implicit-def: $vgpr18
	s_and_saveexec_b64 s[4:5], vcc
	s_xor_b64 s[4:5], exec, s[4:5]
; %bb.8:                                ;   in Loop: Header=BB7_3 Depth=1
	v_bfe_u32 v18, v6, 16, 1
	v_add3_u32 v18, v6, v18, s13
                                        ; implicit-def: $vgpr6
; %bb.9:                                ;   in Loop: Header=BB7_3 Depth=1
	s_andn2_saveexec_b64 s[4:5], s[4:5]
; %bb.10:                               ;   in Loop: Header=BB7_3 Depth=1
	v_or_b32_e32 v18, 0x10000, v6
	v_cmp_eq_u32_sdwa vcc, v6, v16 src0_sel:WORD_0 src1_sel:DWORD
	v_cndmask_b32_e32 v18, v18, v6, vcc
; %bb.11:                               ;   in Loop: Header=BB7_3 Depth=1
	s_or_b64 exec, exec, s[4:5]
	v_and_b32_e32 v6, 0xffff0000, v17
	s_waitcnt vmcnt(0)
	v_lshlrev_b32_e32 v17, 16, v2
	v_mul_f32_e32 v17, v17, v6
	v_and_b32_e32 v6, 0x7f800000, v17
	v_cmp_ne_u32_e32 vcc, s12, v6
                                        ; implicit-def: $vgpr6
	s_and_saveexec_b64 s[4:5], vcc
	s_xor_b64 s[4:5], exec, s[4:5]
; %bb.12:                               ;   in Loop: Header=BB7_3 Depth=1
	v_bfe_u32 v6, v17, 16, 1
	v_add3_u32 v6, v17, v6, s13
                                        ; implicit-def: $vgpr17
; %bb.13:                               ;   in Loop: Header=BB7_3 Depth=1
	s_andn2_saveexec_b64 s[4:5], s[4:5]
; %bb.14:                               ;   in Loop: Header=BB7_3 Depth=1
	v_or_b32_e32 v6, 0x10000, v17
	v_cmp_eq_u32_sdwa vcc, v17, v16 src0_sel:WORD_0 src1_sel:DWORD
	v_cndmask_b32_e32 v6, v6, v17, vcc
; %bb.15:                               ;   in Loop: Header=BB7_3 Depth=1
	s_or_b64 exec, exec, s[4:5]
	v_and_b32_e32 v17, 0xffff0000, v18
	v_and_b32_e32 v2, 0xffff0000, v2
	v_mul_f32_e32 v17, v2, v17
	v_and_b32_e32 v2, 0x7f800000, v17
	v_cmp_ne_u32_e32 vcc, s12, v2
                                        ; implicit-def: $vgpr2
	s_and_saveexec_b64 s[4:5], vcc
	s_xor_b64 s[4:5], exec, s[4:5]
; %bb.16:                               ;   in Loop: Header=BB7_3 Depth=1
	v_bfe_u32 v2, v17, 16, 1
	v_add3_u32 v2, v17, v2, s13
                                        ; implicit-def: $vgpr17
; %bb.17:                               ;   in Loop: Header=BB7_3 Depth=1
	s_andn2_saveexec_b64 s[4:5], s[4:5]
; %bb.18:                               ;   in Loop: Header=BB7_3 Depth=1
	v_or_b32_e32 v2, 0x10000, v17
	v_cmp_eq_u32_sdwa vcc, v17, v16 src0_sel:WORD_0 src1_sel:DWORD
	v_cndmask_b32_e32 v2, v2, v17, vcc
; %bb.19:                               ;   in Loop: Header=BB7_3 Depth=1
	s_or_b64 exec, exec, s[4:5]
	v_lshlrev_b32_e32 v17, 16, v7
	v_mul_f32_e32 v18, 0xbfb8aa3b, v17
	v_rndne_f32_e32 v19, v18
	v_sub_f32_e32 v20, v18, v19
	v_fma_f32 v18, v17, s9, -v18
	v_fmac_f32_e32 v18, 0xb2a5705f, v17
	v_add_f32_e32 v18, v20, v18
	v_cvt_i32_f32_e32 v19, v19
	v_exp_f32_e32 v18, v18
	v_cmp_nlt_f32_e32 vcc, s10, v17
	v_ldexp_f32 v18, v18, v19
	v_cndmask_b32_e32 v18, 0, v18, vcc
	v_cmp_ngt_f32_e32 vcc, s11, v17
	v_cndmask_b32_e32 v18, v15, v18, vcc
	v_add_f32_e32 v18, 1.0, v18
	v_div_scale_f32 v19, s[4:5], v18, v18, v17
	v_rcp_f32_e32 v20, v19
	v_fma_f32 v21, -v19, v20, 1.0
	v_fmac_f32_e32 v20, v21, v20
	v_div_scale_f32 v21, vcc, v17, v18, v17
	v_mul_f32_e32 v22, v21, v20
	v_fma_f32 v23, -v19, v22, v21
	v_fmac_f32_e32 v22, v23, v20
	v_fma_f32 v19, -v19, v22, v21
	v_div_fmas_f32 v19, v19, v20, v22
	v_div_fixup_f32 v18, v19, v18, v17
	v_and_b32_e32 v17, 0x7f800000, v18
	v_cmp_ne_u32_e32 vcc, s12, v17
                                        ; implicit-def: $vgpr17
	s_and_saveexec_b64 s[4:5], vcc
	s_xor_b64 s[4:5], exec, s[4:5]
; %bb.20:                               ;   in Loop: Header=BB7_3 Depth=1
	v_bfe_u32 v17, v18, 16, 1
	v_add3_u32 v17, v18, v17, s13
                                        ; implicit-def: $vgpr18
; %bb.21:                               ;   in Loop: Header=BB7_3 Depth=1
	s_andn2_saveexec_b64 s[4:5], s[4:5]
; %bb.22:                               ;   in Loop: Header=BB7_3 Depth=1
	v_or_b32_e32 v17, 0x10000, v18
	v_cmp_eq_u32_sdwa vcc, v18, v16 src0_sel:WORD_0 src1_sel:DWORD
	v_cndmask_b32_e32 v17, v17, v18, vcc
; %bb.23:                               ;   in Loop: Header=BB7_3 Depth=1
	s_or_b64 exec, exec, s[4:5]
	v_and_b32_e32 v7, 0xffff0000, v7
	v_mul_f32_e32 v18, 0xbfb8aa3b, v7
	v_fma_f32 v19, v7, s9, -v18
	v_rndne_f32_e32 v20, v18
	v_fmac_f32_e32 v19, 0xb2a5705f, v7
	v_sub_f32_e32 v18, v18, v20
	v_add_f32_e32 v18, v18, v19
	v_cvt_i32_f32_e32 v19, v20
	v_exp_f32_e32 v18, v18
	v_cmp_nlt_f32_e32 vcc, s10, v7
	v_ldexp_f32 v18, v18, v19
	v_cndmask_b32_e32 v18, 0, v18, vcc
	v_cmp_ngt_f32_e32 vcc, s11, v7
	v_cndmask_b32_e32 v18, v15, v18, vcc
	v_add_f32_e32 v18, 1.0, v18
	v_div_scale_f32 v19, s[4:5], v18, v18, v7
	v_rcp_f32_e32 v20, v19
	v_fma_f32 v21, -v19, v20, 1.0
	v_fmac_f32_e32 v20, v21, v20
	v_div_scale_f32 v21, vcc, v7, v18, v7
	v_mul_f32_e32 v22, v21, v20
	v_fma_f32 v23, -v19, v22, v21
	v_fmac_f32_e32 v22, v23, v20
	v_fma_f32 v19, -v19, v22, v21
	v_div_fmas_f32 v19, v19, v20, v22
	v_div_fixup_f32 v7, v19, v18, v7
	v_and_b32_e32 v18, 0x7f800000, v7
	v_cmp_ne_u32_e32 vcc, s12, v18
                                        ; implicit-def: $vgpr18
	s_and_saveexec_b64 s[4:5], vcc
	s_xor_b64 s[4:5], exec, s[4:5]
; %bb.24:                               ;   in Loop: Header=BB7_3 Depth=1
	v_bfe_u32 v18, v7, 16, 1
	v_add3_u32 v18, v7, v18, s13
                                        ; implicit-def: $vgpr7
; %bb.25:                               ;   in Loop: Header=BB7_3 Depth=1
	s_andn2_saveexec_b64 s[4:5], s[4:5]
; %bb.26:                               ;   in Loop: Header=BB7_3 Depth=1
	v_or_b32_e32 v18, 0x10000, v7
	v_cmp_eq_u32_sdwa vcc, v7, v16 src0_sel:WORD_0 src1_sel:DWORD
	v_cndmask_b32_e32 v18, v18, v7, vcc
; %bb.27:                               ;   in Loop: Header=BB7_3 Depth=1
	s_or_b64 exec, exec, s[4:5]
	v_and_b32_e32 v7, 0xffff0000, v17
	v_lshlrev_b32_e32 v17, 16, v3
	v_mul_f32_e32 v17, v17, v7
	v_and_b32_e32 v7, 0x7f800000, v17
	v_cmp_ne_u32_e32 vcc, s12, v7
                                        ; implicit-def: $vgpr7
	s_and_saveexec_b64 s[4:5], vcc
	s_xor_b64 s[4:5], exec, s[4:5]
; %bb.28:                               ;   in Loop: Header=BB7_3 Depth=1
	v_bfe_u32 v7, v17, 16, 1
	v_add3_u32 v7, v17, v7, s13
                                        ; implicit-def: $vgpr17
; %bb.29:                               ;   in Loop: Header=BB7_3 Depth=1
	s_andn2_saveexec_b64 s[4:5], s[4:5]
; %bb.30:                               ;   in Loop: Header=BB7_3 Depth=1
	v_or_b32_e32 v7, 0x10000, v17
	v_cmp_eq_u32_sdwa vcc, v17, v16 src0_sel:WORD_0 src1_sel:DWORD
	v_cndmask_b32_e32 v7, v7, v17, vcc
; %bb.31:                               ;   in Loop: Header=BB7_3 Depth=1
	s_or_b64 exec, exec, s[4:5]
	v_and_b32_e32 v17, 0xffff0000, v18
	v_and_b32_e32 v3, 0xffff0000, v3
	v_mul_f32_e32 v17, v3, v17
	v_and_b32_e32 v3, 0x7f800000, v17
	v_cmp_ne_u32_e32 vcc, s12, v3
                                        ; implicit-def: $vgpr3
	s_and_saveexec_b64 s[4:5], vcc
	s_xor_b64 s[4:5], exec, s[4:5]
; %bb.32:                               ;   in Loop: Header=BB7_3 Depth=1
	v_bfe_u32 v3, v17, 16, 1
	v_add3_u32 v3, v17, v3, s13
                                        ; implicit-def: $vgpr17
; %bb.33:                               ;   in Loop: Header=BB7_3 Depth=1
	s_andn2_saveexec_b64 s[4:5], s[4:5]
; %bb.34:                               ;   in Loop: Header=BB7_3 Depth=1
	v_or_b32_e32 v3, 0x10000, v17
	v_cmp_eq_u32_sdwa vcc, v17, v16 src0_sel:WORD_0 src1_sel:DWORD
	v_cndmask_b32_e32 v3, v3, v17, vcc
; %bb.35:                               ;   in Loop: Header=BB7_3 Depth=1
	s_or_b64 exec, exec, s[4:5]
	v_lshlrev_b32_e32 v17, 16, v8
	v_mul_f32_e32 v18, 0xbfb8aa3b, v17
	v_rndne_f32_e32 v19, v18
	v_sub_f32_e32 v20, v18, v19
	v_fma_f32 v18, v17, s9, -v18
	v_fmac_f32_e32 v18, 0xb2a5705f, v17
	v_add_f32_e32 v18, v20, v18
	v_cvt_i32_f32_e32 v19, v19
	v_exp_f32_e32 v18, v18
	v_cmp_nlt_f32_e32 vcc, s10, v17
	v_ldexp_f32 v18, v18, v19
	v_cndmask_b32_e32 v18, 0, v18, vcc
	v_cmp_ngt_f32_e32 vcc, s11, v17
	v_cndmask_b32_e32 v18, v15, v18, vcc
	v_add_f32_e32 v18, 1.0, v18
	v_div_scale_f32 v19, s[4:5], v18, v18, v17
	v_rcp_f32_e32 v20, v19
	v_fma_f32 v21, -v19, v20, 1.0
	v_fmac_f32_e32 v20, v21, v20
	v_div_scale_f32 v21, vcc, v17, v18, v17
	v_mul_f32_e32 v22, v21, v20
	v_fma_f32 v23, -v19, v22, v21
	v_fmac_f32_e32 v22, v23, v20
	v_fma_f32 v19, -v19, v22, v21
	v_div_fmas_f32 v19, v19, v20, v22
	v_div_fixup_f32 v18, v19, v18, v17
	v_and_b32_e32 v17, 0x7f800000, v18
	v_cmp_ne_u32_e32 vcc, s12, v17
                                        ; implicit-def: $vgpr17
	s_and_saveexec_b64 s[4:5], vcc
	s_xor_b64 s[4:5], exec, s[4:5]
; %bb.36:                               ;   in Loop: Header=BB7_3 Depth=1
	v_bfe_u32 v17, v18, 16, 1
	v_add3_u32 v17, v18, v17, s13
                                        ; implicit-def: $vgpr18
; %bb.37:                               ;   in Loop: Header=BB7_3 Depth=1
	s_andn2_saveexec_b64 s[4:5], s[4:5]
; %bb.38:                               ;   in Loop: Header=BB7_3 Depth=1
	v_or_b32_e32 v17, 0x10000, v18
	v_cmp_eq_u32_sdwa vcc, v18, v16 src0_sel:WORD_0 src1_sel:DWORD
	v_cndmask_b32_e32 v17, v17, v18, vcc
; %bb.39:                               ;   in Loop: Header=BB7_3 Depth=1
	s_or_b64 exec, exec, s[4:5]
	v_and_b32_e32 v8, 0xffff0000, v8
	v_mul_f32_e32 v18, 0xbfb8aa3b, v8
	v_fma_f32 v19, v8, s9, -v18
	v_rndne_f32_e32 v20, v18
	v_fmac_f32_e32 v19, 0xb2a5705f, v8
	v_sub_f32_e32 v18, v18, v20
	v_add_f32_e32 v18, v18, v19
	v_cvt_i32_f32_e32 v19, v20
	v_exp_f32_e32 v18, v18
	v_cmp_nlt_f32_e32 vcc, s10, v8
	v_ldexp_f32 v18, v18, v19
	v_cndmask_b32_e32 v18, 0, v18, vcc
	v_cmp_ngt_f32_e32 vcc, s11, v8
	v_cndmask_b32_e32 v18, v15, v18, vcc
	v_add_f32_e32 v18, 1.0, v18
	v_div_scale_f32 v19, s[4:5], v18, v18, v8
	v_rcp_f32_e32 v20, v19
	v_fma_f32 v21, -v19, v20, 1.0
	v_fmac_f32_e32 v20, v21, v20
	v_div_scale_f32 v21, vcc, v8, v18, v8
	v_mul_f32_e32 v22, v21, v20
	v_fma_f32 v23, -v19, v22, v21
	v_fmac_f32_e32 v22, v23, v20
	v_fma_f32 v19, -v19, v22, v21
	v_div_fmas_f32 v19, v19, v20, v22
	v_div_fixup_f32 v8, v19, v18, v8
	v_and_b32_e32 v18, 0x7f800000, v8
	v_cmp_ne_u32_e32 vcc, s12, v18
                                        ; implicit-def: $vgpr18
	s_and_saveexec_b64 s[4:5], vcc
	s_xor_b64 s[4:5], exec, s[4:5]
; %bb.40:                               ;   in Loop: Header=BB7_3 Depth=1
	v_bfe_u32 v18, v8, 16, 1
	v_add3_u32 v18, v8, v18, s13
                                        ; implicit-def: $vgpr8
; %bb.41:                               ;   in Loop: Header=BB7_3 Depth=1
	s_andn2_saveexec_b64 s[4:5], s[4:5]
; %bb.42:                               ;   in Loop: Header=BB7_3 Depth=1
	v_or_b32_e32 v18, 0x10000, v8
	v_cmp_eq_u32_sdwa vcc, v8, v16 src0_sel:WORD_0 src1_sel:DWORD
	v_cndmask_b32_e32 v18, v18, v8, vcc
; %bb.43:                               ;   in Loop: Header=BB7_3 Depth=1
	s_or_b64 exec, exec, s[4:5]
	v_and_b32_e32 v8, 0xffff0000, v17
	v_lshlrev_b32_e32 v17, 16, v4
	v_mul_f32_e32 v17, v17, v8
	v_and_b32_e32 v8, 0x7f800000, v17
	v_cmp_ne_u32_e32 vcc, s12, v8
                                        ; implicit-def: $vgpr8
	s_and_saveexec_b64 s[4:5], vcc
	s_xor_b64 s[4:5], exec, s[4:5]
; %bb.44:                               ;   in Loop: Header=BB7_3 Depth=1
	v_bfe_u32 v8, v17, 16, 1
	v_add3_u32 v8, v17, v8, s13
                                        ; implicit-def: $vgpr17
; %bb.45:                               ;   in Loop: Header=BB7_3 Depth=1
	s_andn2_saveexec_b64 s[4:5], s[4:5]
; %bb.46:                               ;   in Loop: Header=BB7_3 Depth=1
	v_or_b32_e32 v8, 0x10000, v17
	v_cmp_eq_u32_sdwa vcc, v17, v16 src0_sel:WORD_0 src1_sel:DWORD
	v_cndmask_b32_e32 v8, v8, v17, vcc
; %bb.47:                               ;   in Loop: Header=BB7_3 Depth=1
	s_or_b64 exec, exec, s[4:5]
	v_and_b32_e32 v17, 0xffff0000, v18
	v_and_b32_e32 v4, 0xffff0000, v4
	v_mul_f32_e32 v17, v4, v17
	v_and_b32_e32 v4, 0x7f800000, v17
	v_cmp_ne_u32_e32 vcc, s12, v4
                                        ; implicit-def: $vgpr4
	s_and_saveexec_b64 s[4:5], vcc
	s_xor_b64 s[4:5], exec, s[4:5]
; %bb.48:                               ;   in Loop: Header=BB7_3 Depth=1
	v_bfe_u32 v4, v17, 16, 1
	v_add3_u32 v4, v17, v4, s13
                                        ; implicit-def: $vgpr17
; %bb.49:                               ;   in Loop: Header=BB7_3 Depth=1
	s_andn2_saveexec_b64 s[4:5], s[4:5]
; %bb.50:                               ;   in Loop: Header=BB7_3 Depth=1
	v_or_b32_e32 v4, 0x10000, v17
	v_cmp_eq_u32_sdwa vcc, v17, v16 src0_sel:WORD_0 src1_sel:DWORD
	v_cndmask_b32_e32 v4, v4, v17, vcc
; %bb.51:                               ;   in Loop: Header=BB7_3 Depth=1
	s_or_b64 exec, exec, s[4:5]
	v_lshlrev_b32_e32 v17, 16, v9
	v_mul_f32_e32 v18, 0xbfb8aa3b, v17
	v_rndne_f32_e32 v19, v18
	v_sub_f32_e32 v20, v18, v19
	v_fma_f32 v18, v17, s9, -v18
	v_fmac_f32_e32 v18, 0xb2a5705f, v17
	v_add_f32_e32 v18, v20, v18
	v_cvt_i32_f32_e32 v19, v19
	v_exp_f32_e32 v18, v18
	v_cmp_nlt_f32_e32 vcc, s10, v17
	v_ldexp_f32 v18, v18, v19
	v_cndmask_b32_e32 v18, 0, v18, vcc
	v_cmp_ngt_f32_e32 vcc, s11, v17
	v_cndmask_b32_e32 v18, v15, v18, vcc
	v_add_f32_e32 v18, 1.0, v18
	v_div_scale_f32 v19, s[4:5], v18, v18, v17
	v_rcp_f32_e32 v20, v19
	v_fma_f32 v21, -v19, v20, 1.0
	v_fmac_f32_e32 v20, v21, v20
	v_div_scale_f32 v21, vcc, v17, v18, v17
	v_mul_f32_e32 v22, v21, v20
	v_fma_f32 v23, -v19, v22, v21
	v_fmac_f32_e32 v22, v23, v20
	v_fma_f32 v19, -v19, v22, v21
	v_div_fmas_f32 v19, v19, v20, v22
	v_div_fixup_f32 v18, v19, v18, v17
	v_and_b32_e32 v17, 0x7f800000, v18
	v_cmp_ne_u32_e32 vcc, s12, v17
                                        ; implicit-def: $vgpr17
	s_and_saveexec_b64 s[4:5], vcc
	s_xor_b64 s[4:5], exec, s[4:5]
; %bb.52:                               ;   in Loop: Header=BB7_3 Depth=1
	v_bfe_u32 v17, v18, 16, 1
	v_add3_u32 v17, v18, v17, s13
                                        ; implicit-def: $vgpr18
; %bb.53:                               ;   in Loop: Header=BB7_3 Depth=1
	s_andn2_saveexec_b64 s[4:5], s[4:5]
; %bb.54:                               ;   in Loop: Header=BB7_3 Depth=1
	v_or_b32_e32 v17, 0x10000, v18
	v_cmp_eq_u32_sdwa vcc, v18, v16 src0_sel:WORD_0 src1_sel:DWORD
	v_cndmask_b32_e32 v17, v17, v18, vcc
; %bb.55:                               ;   in Loop: Header=BB7_3 Depth=1
	s_or_b64 exec, exec, s[4:5]
	v_and_b32_e32 v9, 0xffff0000, v9
	v_mul_f32_e32 v18, 0xbfb8aa3b, v9
	v_fma_f32 v19, v9, s9, -v18
	v_rndne_f32_e32 v20, v18
	v_fmac_f32_e32 v19, 0xb2a5705f, v9
	v_sub_f32_e32 v18, v18, v20
	v_add_f32_e32 v18, v18, v19
	v_cvt_i32_f32_e32 v19, v20
	v_exp_f32_e32 v18, v18
	v_cmp_nlt_f32_e32 vcc, s10, v9
	v_ldexp_f32 v18, v18, v19
	v_cndmask_b32_e32 v18, 0, v18, vcc
	v_cmp_ngt_f32_e32 vcc, s11, v9
	v_cndmask_b32_e32 v18, v15, v18, vcc
	v_add_f32_e32 v18, 1.0, v18
	v_div_scale_f32 v19, s[4:5], v18, v18, v9
	v_rcp_f32_e32 v20, v19
	v_fma_f32 v21, -v19, v20, 1.0
	v_fmac_f32_e32 v20, v21, v20
	v_div_scale_f32 v21, vcc, v9, v18, v9
	v_mul_f32_e32 v22, v21, v20
	v_fma_f32 v23, -v19, v22, v21
	v_fmac_f32_e32 v22, v23, v20
	v_fma_f32 v19, -v19, v22, v21
	v_div_fmas_f32 v19, v19, v20, v22
	v_div_fixup_f32 v18, v19, v18, v9
	v_and_b32_e32 v9, 0x7f800000, v18
	v_cmp_ne_u32_e32 vcc, s12, v9
                                        ; implicit-def: $vgpr9
	s_and_saveexec_b64 s[4:5], vcc
	s_xor_b64 s[4:5], exec, s[4:5]
; %bb.56:                               ;   in Loop: Header=BB7_3 Depth=1
	v_bfe_u32 v9, v18, 16, 1
	v_add3_u32 v9, v18, v9, s13
                                        ; implicit-def: $vgpr18
; %bb.57:                               ;   in Loop: Header=BB7_3 Depth=1
	s_andn2_saveexec_b64 s[4:5], s[4:5]
; %bb.58:                               ;   in Loop: Header=BB7_3 Depth=1
	v_or_b32_e32 v9, 0x10000, v18
	v_cmp_eq_u32_sdwa vcc, v18, v16 src0_sel:WORD_0 src1_sel:DWORD
	v_cndmask_b32_e32 v9, v9, v18, vcc
; %bb.59:                               ;   in Loop: Header=BB7_3 Depth=1
	s_or_b64 exec, exec, s[4:5]
	v_and_b32_e32 v17, 0xffff0000, v17
	v_lshlrev_b32_e32 v18, 16, v5
	v_mul_f32_e32 v18, v18, v17
	v_and_b32_e32 v17, 0x7f800000, v18
	v_cmp_ne_u32_e32 vcc, s12, v17
                                        ; implicit-def: $vgpr17
	s_and_saveexec_b64 s[4:5], vcc
	s_xor_b64 s[4:5], exec, s[4:5]
; %bb.60:                               ;   in Loop: Header=BB7_3 Depth=1
	v_bfe_u32 v17, v18, 16, 1
	v_add3_u32 v17, v18, v17, s13
                                        ; implicit-def: $vgpr18
; %bb.61:                               ;   in Loop: Header=BB7_3 Depth=1
	s_andn2_saveexec_b64 s[4:5], s[4:5]
; %bb.62:                               ;   in Loop: Header=BB7_3 Depth=1
	v_or_b32_e32 v17, 0x10000, v18
	v_cmp_eq_u32_sdwa vcc, v18, v16 src0_sel:WORD_0 src1_sel:DWORD
	v_cndmask_b32_e32 v17, v17, v18, vcc
; %bb.63:                               ;   in Loop: Header=BB7_3 Depth=1
	s_or_b64 exec, exec, s[4:5]
	v_and_b32_e32 v9, 0xffff0000, v9
	v_and_b32_e32 v5, 0xffff0000, v5
	v_mul_f32_e32 v5, v5, v9
	v_and_b32_e32 v9, 0x7f800000, v5
	v_cmp_ne_u32_e32 vcc, s12, v9
                                        ; implicit-def: $vgpr9
	s_and_saveexec_b64 s[4:5], vcc
	s_xor_b64 s[4:5], exec, s[4:5]
; %bb.64:                               ;   in Loop: Header=BB7_3 Depth=1
	v_bfe_u32 v9, v5, 16, 1
	v_add3_u32 v9, v5, v9, s13
                                        ; implicit-def: $vgpr5
; %bb.65:                               ;   in Loop: Header=BB7_3 Depth=1
	s_andn2_saveexec_b64 s[4:5], s[4:5]
	s_cbranch_execz .LBB7_2
; %bb.66:                               ;   in Loop: Header=BB7_3 Depth=1
	v_or_b32_e32 v9, 0x10000, v5
	v_cmp_eq_u32_sdwa vcc, v5, v16 src0_sel:WORD_0 src1_sel:DWORD
	v_cndmask_b32_e32 v9, v9, v5, vcc
	s_branch .LBB7_2
.LBB7_67:
	s_endpgm
	.section	.rodata,"a",@progbits
	.p2align	6, 0x0
	.amdhsa_kernel _ZN4vllm18act_and_mul_kernelIN3c108BFloat16E15__hip_bfloat162TnPFT_RKS4_EXadL_ZNS_11silu_kernelIS2_EES4_S6_EETnPFT0_RKSA_EXadL_ZNS_18packed_silu_kernelIS3_EES4_S6_EELb1ELb1ELb0ELb0EEEvPS4_PS5_if
		.amdhsa_group_segment_fixed_size 0
		.amdhsa_private_segment_fixed_size 0
		.amdhsa_kernarg_size 280
		.amdhsa_user_sgpr_count 6
		.amdhsa_user_sgpr_private_segment_buffer 1
		.amdhsa_user_sgpr_dispatch_ptr 0
		.amdhsa_user_sgpr_queue_ptr 0
		.amdhsa_user_sgpr_kernarg_segment_ptr 1
		.amdhsa_user_sgpr_dispatch_id 0
		.amdhsa_user_sgpr_flat_scratch_init 0
		.amdhsa_user_sgpr_kernarg_preload_length 0
		.amdhsa_user_sgpr_kernarg_preload_offset 0
		.amdhsa_user_sgpr_private_segment_size 0
		.amdhsa_uses_dynamic_stack 0
		.amdhsa_system_sgpr_private_segment_wavefront_offset 0
		.amdhsa_system_sgpr_workgroup_id_x 1
		.amdhsa_system_sgpr_workgroup_id_y 0
		.amdhsa_system_sgpr_workgroup_id_z 0
		.amdhsa_system_sgpr_workgroup_info 0
		.amdhsa_system_vgpr_workitem_id 0
		.amdhsa_next_free_vgpr 24
		.amdhsa_next_free_sgpr 16
		.amdhsa_accum_offset 24
		.amdhsa_reserve_vcc 1
		.amdhsa_reserve_flat_scratch 0
		.amdhsa_float_round_mode_32 0
		.amdhsa_float_round_mode_16_64 0
		.amdhsa_float_denorm_mode_32 3
		.amdhsa_float_denorm_mode_16_64 3
		.amdhsa_dx10_clamp 1
		.amdhsa_ieee_mode 1
		.amdhsa_fp16_overflow 0
		.amdhsa_tg_split 0
		.amdhsa_exception_fp_ieee_invalid_op 0
		.amdhsa_exception_fp_denorm_src 0
		.amdhsa_exception_fp_ieee_div_zero 0
		.amdhsa_exception_fp_ieee_overflow 0
		.amdhsa_exception_fp_ieee_underflow 0
		.amdhsa_exception_fp_ieee_inexact 0
		.amdhsa_exception_int_div_zero 0
	.end_amdhsa_kernel
	.section	.text._ZN4vllm18act_and_mul_kernelIN3c108BFloat16E15__hip_bfloat162TnPFT_RKS4_EXadL_ZNS_11silu_kernelIS2_EES4_S6_EETnPFT0_RKSA_EXadL_ZNS_18packed_silu_kernelIS3_EES4_S6_EELb1ELb1ELb0ELb0EEEvPS4_PS5_if,"axG",@progbits,_ZN4vllm18act_and_mul_kernelIN3c108BFloat16E15__hip_bfloat162TnPFT_RKS4_EXadL_ZNS_11silu_kernelIS2_EES4_S6_EETnPFT0_RKSA_EXadL_ZNS_18packed_silu_kernelIS3_EES4_S6_EELb1ELb1ELb0ELb0EEEvPS4_PS5_if,comdat
.Lfunc_end7:
	.size	_ZN4vllm18act_and_mul_kernelIN3c108BFloat16E15__hip_bfloat162TnPFT_RKS4_EXadL_ZNS_11silu_kernelIS2_EES4_S6_EETnPFT0_RKSA_EXadL_ZNS_18packed_silu_kernelIS3_EES4_S6_EELb1ELb1ELb0ELb0EEEvPS4_PS5_if, .Lfunc_end7-_ZN4vllm18act_and_mul_kernelIN3c108BFloat16E15__hip_bfloat162TnPFT_RKS4_EXadL_ZNS_11silu_kernelIS2_EES4_S6_EETnPFT0_RKSA_EXadL_ZNS_18packed_silu_kernelIS3_EES4_S6_EELb1ELb1ELb0ELb0EEEvPS4_PS5_if
                                        ; -- End function
	.section	.AMDGPU.csdata,"",@progbits
; Kernel info:
; codeLenInByte = 2728
; NumSgprs: 20
; NumVgprs: 24
; NumAgprs: 0
; TotalNumVgprs: 24
; ScratchSize: 0
; MemoryBound: 0
; FloatMode: 240
; IeeeMode: 1
; LDSByteSize: 0 bytes/workgroup (compile time only)
; SGPRBlocks: 2
; VGPRBlocks: 2
; NumSGPRsForWavesPerEU: 20
; NumVGPRsForWavesPerEU: 24
; AccumOffset: 24
; Occupancy: 8
; WaveLimiterHint : 0
; COMPUTE_PGM_RSRC2:SCRATCH_EN: 0
; COMPUTE_PGM_RSRC2:USER_SGPR: 6
; COMPUTE_PGM_RSRC2:TRAP_HANDLER: 0
; COMPUTE_PGM_RSRC2:TGID_X_EN: 1
; COMPUTE_PGM_RSRC2:TGID_Y_EN: 0
; COMPUTE_PGM_RSRC2:TGID_Z_EN: 0
; COMPUTE_PGM_RSRC2:TIDIG_COMP_CNT: 0
; COMPUTE_PGM_RSRC3_GFX90A:ACCUM_OFFSET: 5
; COMPUTE_PGM_RSRC3_GFX90A:TG_SPLIT: 0
	.section	.text._ZN4vllm18act_and_mul_kernelIf15HIP_vector_typeIfLj2EETnPFT_RKS3_EXadL_ZNS_11silu_kernelIfEES3_S5_EETnPFT0_RKS9_EXadL_ZNS_18packed_silu_kernelIS2_EES3_S5_EELb1ELb0ELb0ELb0EEEvPS3_PS4_if,"axG",@progbits,_ZN4vllm18act_and_mul_kernelIf15HIP_vector_typeIfLj2EETnPFT_RKS3_EXadL_ZNS_11silu_kernelIfEES3_S5_EETnPFT0_RKS9_EXadL_ZNS_18packed_silu_kernelIS2_EES3_S5_EELb1ELb0ELb0ELb0EEEvPS3_PS4_if,comdat
	.protected	_ZN4vllm18act_and_mul_kernelIf15HIP_vector_typeIfLj2EETnPFT_RKS3_EXadL_ZNS_11silu_kernelIfEES3_S5_EETnPFT0_RKS9_EXadL_ZNS_18packed_silu_kernelIS2_EES3_S5_EELb1ELb0ELb0ELb0EEEvPS3_PS4_if ; -- Begin function _ZN4vllm18act_and_mul_kernelIf15HIP_vector_typeIfLj2EETnPFT_RKS3_EXadL_ZNS_11silu_kernelIfEES3_S5_EETnPFT0_RKS9_EXadL_ZNS_18packed_silu_kernelIS2_EES3_S5_EELb1ELb0ELb0ELb0EEEvPS3_PS4_if
	.globl	_ZN4vllm18act_and_mul_kernelIf15HIP_vector_typeIfLj2EETnPFT_RKS3_EXadL_ZNS_11silu_kernelIfEES3_S5_EETnPFT0_RKS9_EXadL_ZNS_18packed_silu_kernelIS2_EES3_S5_EELb1ELb0ELb0ELb0EEEvPS3_PS4_if
	.p2align	8
	.type	_ZN4vllm18act_and_mul_kernelIf15HIP_vector_typeIfLj2EETnPFT_RKS3_EXadL_ZNS_11silu_kernelIfEES3_S5_EETnPFT0_RKS9_EXadL_ZNS_18packed_silu_kernelIS2_EES3_S5_EELb1ELb0ELb0ELb0EEEvPS3_PS4_if,@function
_ZN4vllm18act_and_mul_kernelIf15HIP_vector_typeIfLj2EETnPFT_RKS3_EXadL_ZNS_11silu_kernelIfEES3_S5_EETnPFT0_RKS9_EXadL_ZNS_18packed_silu_kernelIS2_EES3_S5_EELb1ELb0ELb0ELb0EEEvPS3_PS4_if: ; @_ZN4vllm18act_and_mul_kernelIf15HIP_vector_typeIfLj2EETnPFT_RKS3_EXadL_ZNS_11silu_kernelIfEES3_S5_EETnPFT0_RKS9_EXadL_ZNS_18packed_silu_kernelIS2_EES3_S5_EELb1ELb0ELb0ELb0EEEvPS3_PS4_if
; %bb.0:
	s_load_dword s2, s[4:5], 0x10
	s_waitcnt lgkmcnt(0)
	v_cmp_gt_i32_e32 vcc, s2, v0
	s_and_saveexec_b64 s[0:1], vcc
	s_cbranch_execz .LBB8_12
; %bb.1:
	s_load_dword s0, s[4:5], 0x24
	s_ashr_i32 s3, s2, 31
	v_mov_b32_e32 v2, s3
	v_mov_b32_e32 v1, 0
	s_mov_b32 s19, 0
	s_waitcnt lgkmcnt(0)
	s_and_b32 s18, s0, 0xffff
	v_add_co_u32_e32 v4, vcc, s18, v0
	v_addc_co_u32_e64 v5, s[0:1], 0, 0, vcc
	v_cmp_lt_i64_e32 vcc, s[2:3], v[4:5]
	v_cndmask_b32_e32 v6, v2, v5, vcc
	v_mov_b32_e32 v2, s2
	v_cndmask_b32_e32 v3, v2, v4, vcc
	v_cmp_gt_i64_e32 vcc, s[2:3], v[4:5]
	v_cndmask_b32_e64 v2, 0, 1, vcc
	v_add_co_u32_e32 v4, vcc, v4, v2
	v_addc_co_u32_e32 v5, vcc, 0, v5, vcc
	v_sub_co_u32_e32 v3, vcc, v3, v4
	v_subb_co_u32_e32 v5, vcc, v6, v5, vcc
	v_mov_b32_e32 v4, v1
	v_cmp_ne_u64_e32 vcc, 0, v[4:5]
                                        ; implicit-def: $vgpr6_vgpr7
	s_and_saveexec_b64 s[0:1], vcc
	s_xor_b64 s[8:9], exec, s[0:1]
	s_cbranch_execz .LBB8_3
; %bb.2:
	v_cvt_f32_u32_e32 v4, s18
	v_mov_b32_e32 v6, 0x4f800000
	s_sub_u32 s0, 0, s18
	s_subb_u32 s1, 0, 0
	v_mac_f32_e32 v4, 0, v6
	v_rcp_f32_e32 v4, v4
	v_mul_f32_e32 v4, 0x5f7ffffc, v4
	v_mul_f32_e32 v6, 0x2f800000, v4
	v_trunc_f32_e32 v6, v6
	v_madmk_f32 v4, v6, 0xcf800000, v4
	v_cvt_u32_f32_e32 v6, v6
	v_cvt_u32_f32_e32 v4, v4
	v_mul_lo_u32 v7, s0, v6
	v_mul_hi_u32 v9, s0, v4
	v_mul_lo_u32 v8, s1, v4
	v_add_u32_e32 v7, v9, v7
	v_mul_lo_u32 v10, s0, v4
	v_add_u32_e32 v7, v7, v8
	v_mul_hi_u32 v9, v4, v10
	v_mul_lo_u32 v11, v4, v7
	v_mul_hi_u32 v8, v4, v7
	v_add_co_u32_e32 v9, vcc, v9, v11
	v_addc_co_u32_e32 v8, vcc, 0, v8, vcc
	v_mul_hi_u32 v12, v6, v10
	v_mul_lo_u32 v10, v6, v10
	v_add_co_u32_e32 v9, vcc, v9, v10
	v_mul_hi_u32 v11, v6, v7
	v_addc_co_u32_e32 v8, vcc, v8, v12, vcc
	v_addc_co_u32_e32 v9, vcc, 0, v11, vcc
	v_mul_lo_u32 v7, v6, v7
	v_add_co_u32_e32 v7, vcc, v8, v7
	v_addc_co_u32_e32 v8, vcc, 0, v9, vcc
	v_add_co_u32_e32 v4, vcc, v4, v7
	v_addc_co_u32_e32 v6, vcc, v6, v8, vcc
	v_mul_lo_u32 v7, s0, v6
	v_mul_hi_u32 v8, s0, v4
	v_add_u32_e32 v7, v8, v7
	v_mul_lo_u32 v8, s1, v4
	v_add_u32_e32 v7, v7, v8
	v_mul_lo_u32 v9, s0, v4
	v_mul_hi_u32 v10, v6, v9
	v_mul_lo_u32 v11, v6, v9
	v_mul_lo_u32 v13, v4, v7
	v_mul_hi_u32 v9, v4, v9
	v_mul_hi_u32 v12, v4, v7
	v_add_co_u32_e32 v9, vcc, v9, v13
	v_addc_co_u32_e32 v12, vcc, 0, v12, vcc
	v_add_co_u32_e32 v9, vcc, v9, v11
	v_mul_hi_u32 v8, v6, v7
	v_addc_co_u32_e32 v9, vcc, v12, v10, vcc
	v_addc_co_u32_e32 v8, vcc, 0, v8, vcc
	v_mul_lo_u32 v7, v6, v7
	v_add_co_u32_e32 v7, vcc, v9, v7
	v_addc_co_u32_e32 v8, vcc, 0, v8, vcc
	v_add_co_u32_e32 v4, vcc, v4, v7
	v_addc_co_u32_e32 v8, vcc, v6, v8, vcc
	v_mad_u64_u32 v[6:7], s[0:1], v3, v8, 0
	v_mul_hi_u32 v9, v3, v4
	v_add_co_u32_e32 v10, vcc, v9, v6
	v_addc_co_u32_e32 v11, vcc, 0, v7, vcc
	v_mad_u64_u32 v[6:7], s[0:1], v5, v8, 0
	v_mad_u64_u32 v[8:9], s[0:1], v5, v4, 0
	v_add_co_u32_e32 v4, vcc, v10, v8
	v_addc_co_u32_e32 v4, vcc, v11, v9, vcc
	v_addc_co_u32_e32 v7, vcc, 0, v7, vcc
	v_add_co_u32_e32 v10, vcc, v4, v6
	v_addc_co_u32_e32 v11, vcc, 0, v7, vcc
	v_mad_u64_u32 v[6:7], s[0:1], s18, v10, 0
	v_mov_b32_e32 v4, v7
	v_mad_u64_u32 v[8:9], s[0:1], s18, v11, v[4:5]
	v_sub_co_u32_e32 v3, vcc, v3, v6
	v_subb_co_u32_e32 v4, vcc, v5, v8, vcc
	v_subrev_co_u32_e32 v5, vcc, s18, v3
	v_subbrev_co_u32_e32 v6, vcc, 0, v4, vcc
	v_cmp_le_u32_e32 vcc, s18, v5
	v_cndmask_b32_e64 v5, 0, -1, vcc
	v_cmp_eq_u32_e32 vcc, 0, v6
	v_cndmask_b32_e32 v5, -1, v5, vcc
	v_add_co_u32_e32 v6, vcc, 2, v10
	v_addc_co_u32_e32 v7, vcc, 0, v11, vcc
	v_add_co_u32_e32 v8, vcc, 1, v10
	v_cmp_le_u32_e64 s[0:1], s18, v3
	v_addc_co_u32_e32 v9, vcc, 0, v11, vcc
	v_cndmask_b32_e64 v3, 0, -1, s[0:1]
	v_cmp_eq_u32_e64 s[0:1], 0, v4
	v_cmp_ne_u32_e32 vcc, 0, v5
	v_cndmask_b32_e64 v3, -1, v3, s[0:1]
	v_cndmask_b32_e32 v5, v9, v7, vcc
	v_cmp_ne_u32_e64 s[0:1], 0, v3
	v_cndmask_b32_e32 v3, v8, v6, vcc
	v_cndmask_b32_e64 v7, v11, v5, s[0:1]
	v_cndmask_b32_e64 v6, v10, v3, s[0:1]
                                        ; implicit-def: $vgpr3
.LBB8_3:
	s_or_saveexec_b64 s[0:1], s[8:9]
	s_load_dwordx4 s[8:11], s[4:5], 0x0
	s_xor_b64 exec, exec, s[0:1]
	s_cbranch_execz .LBB8_5
; %bb.4:
	v_cvt_f32_u32_e32 v4, s18
	s_sub_i32 s4, 0, s18
	v_mov_b32_e32 v7, 0
	v_rcp_iflag_f32_e32 v4, v4
	v_mul_f32_e32 v4, 0x4f7ffffe, v4
	v_cvt_u32_f32_e32 v4, v4
	v_mul_lo_u32 v5, s4, v4
	v_mul_hi_u32 v5, v4, v5
	v_add_u32_e32 v4, v4, v5
	v_mul_hi_u32 v4, v3, v4
	v_mul_lo_u32 v5, v4, s18
	v_sub_u32_e32 v3, v3, v5
	v_add_u32_e32 v6, 1, v4
	v_subrev_u32_e32 v5, s18, v3
	v_cmp_le_u32_e32 vcc, s18, v3
	v_cndmask_b32_e32 v3, v3, v5, vcc
	v_cndmask_b32_e32 v4, v4, v6, vcc
	v_add_u32_e32 v5, 1, v4
	v_cmp_le_u32_e32 vcc, s18, v3
	v_cndmask_b32_e32 v6, v4, v5, vcc
.LBB8_5:
	s_or_b64 exec, exec, s[0:1]
	v_add_co_u32_e32 v2, vcc, v6, v2
	v_addc_co_u32_e32 v3, vcc, 0, v7, vcc
	v_add_co_u32_e32 v2, vcc, 1, v2
	v_addc_co_u32_e32 v3, vcc, 0, v3, vcc
	s_mul_i32 s4, s6, s2
	s_mov_b32 s7, 0
	v_cmp_lt_u64_e32 vcc, 1, v[2:3]
	v_cmp_eq_u16_e64 s[0:1], s18, 1
	s_lshl_b32 s6, s4, 1
	s_mov_b32 s5, s7
	s_and_b64 s[14:15], vcc, s[0:1]
	s_mov_b64 s[0:1], -1
	s_and_saveexec_b64 s[12:13], s[14:15]
	s_cbranch_execz .LBB8_9
; %bb.6:
	s_lshl_b64 s[0:1], s[6:7], 2
	s_waitcnt lgkmcnt(0)
	s_add_u32 s0, s10, s0
	v_lshlrev_b32_e32 v6, 2, v0
	s_addc_u32 s1, s11, s1
	v_mov_b32_e32 v7, s1
	v_add_co_u32_e32 v12, vcc, s0, v6
	v_addc_co_u32_e32 v13, vcc, 0, v7, vcc
	s_lshl_b64 s[0:1], s[2:3], 2
	s_lshl_b32 s20, s18, 3
	v_mov_b32_e32 v7, s1
	v_add_co_u32_e32 v14, vcc, s0, v12
	s_lshl_b64 s[0:1], s[4:5], 2
	s_add_u32 s0, s8, s0
	v_addc_co_u32_e32 v15, vcc, v13, v7, vcc
	s_addc_u32 s1, s9, s1
	v_and_b32_e32 v4, -2, v2
	v_mov_b32_e32 v5, v3
	v_mov_b32_e32 v7, s1
	v_add_co_u32_e32 v16, vcc, s0, v6
	v_addc_co_u32_e32 v17, vcc, 0, v7, vcc
	s_mov_b64 s[14:15], 0
	s_mov_b32 s21, 0xbfb8aa3b
	s_mov_b32 s22, 0x42ce8ed0
	s_mov_b32 s23, 0xc2b17218
	v_mov_b32_e32 v18, 0x7f800000
	s_mov_b64 s[16:17], 0
	v_pk_mov_b32 v[6:7], v[4:5], v[4:5] op_sel:[0,1]
.LBB8_7:                                ; =>This Inner Loop Header: Depth=1
	v_mov_b32_e32 v19, s17
	v_add_co_u32_e32 v8, vcc, s16, v12
	v_addc_co_u32_e32 v9, vcc, v13, v19, vcc
	global_load_dwordx2 v[8:9], v[8:9], off
	v_add_co_u32_e32 v10, vcc, s16, v14
	v_addc_co_u32_e32 v11, vcc, v15, v19, vcc
	global_load_dwordx2 v[10:11], v[10:11], off
	v_add_co_u32_e32 v6, vcc, -2, v6
	v_addc_co_u32_e32 v7, vcc, -1, v7, vcc
	v_add_co_u32_e32 v20, vcc, s16, v16
	v_addc_co_u32_e32 v21, vcc, v17, v19, vcc
	s_add_u32 s16, s16, s20
	s_addc_u32 s17, s17, 0
	v_cmp_eq_u64_e32 vcc, 0, v[6:7]
	s_or_b64 s[14:15], vcc, s[14:15]
	s_waitcnt vmcnt(1)
	v_mul_f32_e32 v19, 0xbfb8aa3b, v9
	v_mul_f32_e32 v22, 0xbfb8aa3b, v8
	v_fma_f32 v23, v9, s21, -v19
	v_rndne_f32_e32 v24, v19
	v_fma_f32 v25, v8, s21, -v22
	v_rndne_f32_e32 v26, v22
	v_fmac_f32_e32 v23, 0xb2a5705f, v9
	v_sub_f32_e32 v19, v19, v24
	v_fmac_f32_e32 v25, 0xb2a5705f, v8
	v_sub_f32_e32 v22, v22, v26
	v_add_f32_e32 v19, v19, v23
	v_add_f32_e32 v22, v22, v25
	v_cvt_i32_f32_e32 v24, v24
	v_cvt_i32_f32_e32 v26, v26
	v_exp_f32_e32 v19, v19
	v_exp_f32_e32 v22, v22
	v_cmp_nlt_f32_e32 vcc, s22, v8
	v_cmp_nlt_f32_e64 s[0:1], s22, v9
	v_ldexp_f32 v19, v19, v24
	v_ldexp_f32 v22, v22, v26
	v_cndmask_b32_e64 v19, 0, v19, s[0:1]
	v_cndmask_b32_e32 v22, 0, v22, vcc
	v_cmp_ngt_f32_e32 vcc, s23, v8
	v_cmp_ngt_f32_e64 s[0:1], s23, v9
	v_cndmask_b32_e64 v23, v18, v19, s[0:1]
	v_cndmask_b32_e32 v22, v18, v22, vcc
	v_pk_add_f32 v[22:23], v[22:23], 1.0 op_sel_hi:[1,0]
	v_div_scale_f32 v19, s[0:1], v23, v23, v9
	v_div_scale_f32 v25, s[0:1], v22, v22, v8
	v_rcp_f32_e32 v27, v19
	v_rcp_f32_e32 v28, v25
	v_div_scale_f32 v24, vcc, v9, v23, v9
	v_fma_f32 v29, -v19, v27, 1.0
	v_fma_f32 v30, -v25, v28, 1.0
	v_fmac_f32_e32 v27, v29, v27
	v_div_scale_f32 v26, s[0:1], v8, v22, v8
	v_fmac_f32_e32 v28, v30, v28
	v_mul_f32_e32 v29, v24, v27
	v_mul_f32_e32 v30, v26, v28
	v_fma_f32 v31, -v19, v29, v24
	v_fma_f32 v32, -v25, v30, v26
	v_fmac_f32_e32 v29, v31, v27
	v_fmac_f32_e32 v30, v32, v28
	v_fma_f32 v19, -v19, v29, v24
	v_fma_f32 v24, -v25, v30, v26
	v_div_fmas_f32 v19, v19, v27, v29
	s_mov_b64 vcc, s[0:1]
	v_div_fixup_f32 v9, v19, v23, v9
	v_div_fmas_f32 v19, v24, v28, v30
	v_div_fixup_f32 v8, v19, v22, v8
	s_waitcnt vmcnt(0)
	v_pk_mul_f32 v[8:9], v[10:11], v[8:9]
	global_store_dwordx2 v[20:21], v[8:9], off
	s_andn2_b64 exec, exec, s[14:15]
	s_cbranch_execnz .LBB8_7
; %bb.8:
	s_or_b64 exec, exec, s[14:15]
	v_mad_u64_u32 v[0:1], s[0:1], v4, s18, v[0:1]
	v_mov_b32_e32 v6, v1
	v_mad_u64_u32 v[6:7], s[0:1], v5, s18, v[6:7]
	v_cmp_ne_u64_e32 vcc, v[2:3], v[4:5]
	v_mov_b32_e32 v1, v6
	s_orn2_b64 s[0:1], vcc, exec
.LBB8_9:
	s_or_b64 exec, exec, s[12:13]
	s_and_b64 exec, exec, s[0:1]
	s_cbranch_execz .LBB8_12
; %bb.10:
	s_lshl_b64 s[0:1], s[6:7], 2
	s_waitcnt lgkmcnt(0)
	s_add_u32 s6, s10, s0
	s_addc_u32 s10, s11, s1
	s_lshl_b64 s[0:1], s[2:3], 2
	s_add_u32 s7, s6, s0
	s_addc_u32 s11, s10, s1
	s_lshl_b64 s[0:1], s[4:5], 2
	s_add_u32 s4, s8, s0
	s_addc_u32 s12, s9, s1
	s_mov_b32 s13, 0
	v_lshlrev_b64 v[2:3], 2, v[0:1]
	s_lshl_b32 s5, s18, 2
	s_mov_b64 s[0:1], 0
	v_mov_b32_e32 v4, s10
	v_mov_b32_e32 v5, s11
	s_mov_b32 s8, 0xbfb8aa3b
	s_mov_b32 s9, 0x42ce8ed0
	;; [unrolled: 1-line block ×3, first 2 shown]
	v_mov_b32_e32 v6, 0x7f800000
	v_mov_b32_e32 v7, s12
	;; [unrolled: 1-line block ×4, first 2 shown]
.LBB8_11:                               ; =>This Inner Loop Header: Depth=1
	v_add_co_u32_e32 v10, vcc, s6, v2
	v_addc_co_u32_e32 v11, vcc, v4, v3, vcc
	global_load_dword v12, v[10:11], off
	v_add_co_u32_e32 v10, vcc, s7, v2
	v_addc_co_u32_e32 v11, vcc, v5, v3, vcc
	global_load_dword v13, v[10:11], off
	v_add_co_u32_e32 v10, vcc, s4, v2
	v_addc_co_u32_e32 v11, vcc, v7, v3, vcc
	v_add_co_u32_e32 v0, vcc, s18, v0
	v_addc_co_u32_e32 v1, vcc, v1, v8, vcc
	;; [unrolled: 2-line block ×3, first 2 shown]
	v_cmp_le_i64_e32 vcc, s[2:3], v[0:1]
	s_or_b64 s[0:1], vcc, s[0:1]
	s_waitcnt vmcnt(1)
	v_mul_f32_e32 v14, 0xbfb8aa3b, v12
	v_fma_f32 v15, v12, s8, -v14
	v_rndne_f32_e32 v16, v14
	v_fmac_f32_e32 v15, 0xb2a5705f, v12
	v_sub_f32_e32 v14, v14, v16
	v_add_f32_e32 v14, v14, v15
	v_cvt_i32_f32_e32 v16, v16
	v_exp_f32_e32 v14, v14
	v_cmp_nlt_f32_e32 vcc, s9, v12
	v_ldexp_f32 v14, v14, v16
	v_cndmask_b32_e32 v14, 0, v14, vcc
	v_cmp_ngt_f32_e32 vcc, s10, v12
	v_cndmask_b32_e32 v14, v6, v14, vcc
	v_add_f32_e32 v14, 1.0, v14
	v_div_scale_f32 v15, s[12:13], v14, v14, v12
	v_rcp_f32_e32 v16, v15
	v_div_scale_f32 v17, vcc, v12, v14, v12
	v_fma_f32 v18, -v15, v16, 1.0
	v_fmac_f32_e32 v16, v18, v16
	v_mul_f32_e32 v18, v17, v16
	v_fma_f32 v19, -v15, v18, v17
	v_fmac_f32_e32 v18, v19, v16
	v_fma_f32 v15, -v15, v18, v17
	v_div_fmas_f32 v15, v15, v16, v18
	v_div_fixup_f32 v12, v15, v14, v12
	s_waitcnt vmcnt(0)
	v_mul_f32_e32 v12, v13, v12
	global_store_dword v[10:11], v12, off
	s_andn2_b64 exec, exec, s[0:1]
	s_cbranch_execnz .LBB8_11
.LBB8_12:
	s_endpgm
	.section	.rodata,"a",@progbits
	.p2align	6, 0x0
	.amdhsa_kernel _ZN4vllm18act_and_mul_kernelIf15HIP_vector_typeIfLj2EETnPFT_RKS3_EXadL_ZNS_11silu_kernelIfEES3_S5_EETnPFT0_RKS9_EXadL_ZNS_18packed_silu_kernelIS2_EES3_S5_EELb1ELb0ELb0ELb0EEEvPS3_PS4_if
		.amdhsa_group_segment_fixed_size 0
		.amdhsa_private_segment_fixed_size 0
		.amdhsa_kernarg_size 280
		.amdhsa_user_sgpr_count 6
		.amdhsa_user_sgpr_private_segment_buffer 1
		.amdhsa_user_sgpr_dispatch_ptr 0
		.amdhsa_user_sgpr_queue_ptr 0
		.amdhsa_user_sgpr_kernarg_segment_ptr 1
		.amdhsa_user_sgpr_dispatch_id 0
		.amdhsa_user_sgpr_flat_scratch_init 0
		.amdhsa_user_sgpr_kernarg_preload_length 0
		.amdhsa_user_sgpr_kernarg_preload_offset 0
		.amdhsa_user_sgpr_private_segment_size 0
		.amdhsa_uses_dynamic_stack 0
		.amdhsa_system_sgpr_private_segment_wavefront_offset 0
		.amdhsa_system_sgpr_workgroup_id_x 1
		.amdhsa_system_sgpr_workgroup_id_y 0
		.amdhsa_system_sgpr_workgroup_id_z 0
		.amdhsa_system_sgpr_workgroup_info 0
		.amdhsa_system_vgpr_workitem_id 0
		.amdhsa_next_free_vgpr 33
		.amdhsa_next_free_sgpr 24
		.amdhsa_accum_offset 36
		.amdhsa_reserve_vcc 1
		.amdhsa_reserve_flat_scratch 0
		.amdhsa_float_round_mode_32 0
		.amdhsa_float_round_mode_16_64 0
		.amdhsa_float_denorm_mode_32 3
		.amdhsa_float_denorm_mode_16_64 3
		.amdhsa_dx10_clamp 1
		.amdhsa_ieee_mode 1
		.amdhsa_fp16_overflow 0
		.amdhsa_tg_split 0
		.amdhsa_exception_fp_ieee_invalid_op 0
		.amdhsa_exception_fp_denorm_src 0
		.amdhsa_exception_fp_ieee_div_zero 0
		.amdhsa_exception_fp_ieee_overflow 0
		.amdhsa_exception_fp_ieee_underflow 0
		.amdhsa_exception_fp_ieee_inexact 0
		.amdhsa_exception_int_div_zero 0
	.end_amdhsa_kernel
	.section	.text._ZN4vllm18act_and_mul_kernelIf15HIP_vector_typeIfLj2EETnPFT_RKS3_EXadL_ZNS_11silu_kernelIfEES3_S5_EETnPFT0_RKS9_EXadL_ZNS_18packed_silu_kernelIS2_EES3_S5_EELb1ELb0ELb0ELb0EEEvPS3_PS4_if,"axG",@progbits,_ZN4vllm18act_and_mul_kernelIf15HIP_vector_typeIfLj2EETnPFT_RKS3_EXadL_ZNS_11silu_kernelIfEES3_S5_EETnPFT0_RKS9_EXadL_ZNS_18packed_silu_kernelIS2_EES3_S5_EELb1ELb0ELb0ELb0EEEvPS3_PS4_if,comdat
.Lfunc_end8:
	.size	_ZN4vllm18act_and_mul_kernelIf15HIP_vector_typeIfLj2EETnPFT_RKS3_EXadL_ZNS_11silu_kernelIfEES3_S5_EETnPFT0_RKS9_EXadL_ZNS_18packed_silu_kernelIS2_EES3_S5_EELb1ELb0ELb0ELb0EEEvPS3_PS4_if, .Lfunc_end8-_ZN4vllm18act_and_mul_kernelIf15HIP_vector_typeIfLj2EETnPFT_RKS3_EXadL_ZNS_11silu_kernelIfEES3_S5_EETnPFT0_RKS9_EXadL_ZNS_18packed_silu_kernelIS2_EES3_S5_EELb1ELb0ELb0ELb0EEEvPS3_PS4_if
                                        ; -- End function
	.section	.AMDGPU.csdata,"",@progbits
; Kernel info:
; codeLenInByte = 1792
; NumSgprs: 28
; NumVgprs: 33
; NumAgprs: 0
; TotalNumVgprs: 33
; ScratchSize: 0
; MemoryBound: 0
; FloatMode: 240
; IeeeMode: 1
; LDSByteSize: 0 bytes/workgroup (compile time only)
; SGPRBlocks: 3
; VGPRBlocks: 4
; NumSGPRsForWavesPerEU: 28
; NumVGPRsForWavesPerEU: 33
; AccumOffset: 36
; Occupancy: 8
; WaveLimiterHint : 0
; COMPUTE_PGM_RSRC2:SCRATCH_EN: 0
; COMPUTE_PGM_RSRC2:USER_SGPR: 6
; COMPUTE_PGM_RSRC2:TRAP_HANDLER: 0
; COMPUTE_PGM_RSRC2:TGID_X_EN: 1
; COMPUTE_PGM_RSRC2:TGID_Y_EN: 0
; COMPUTE_PGM_RSRC2:TGID_Z_EN: 0
; COMPUTE_PGM_RSRC2:TIDIG_COMP_CNT: 0
; COMPUTE_PGM_RSRC3_GFX90A:ACCUM_OFFSET: 8
; COMPUTE_PGM_RSRC3_GFX90A:TG_SPLIT: 0
	.section	.text._ZN4vllm18act_and_mul_kernelIN3c104HalfE7__half2TnPFT_RKS4_EXadL_ZNS_11silu_kernelIS2_EES4_S6_EETnPFT0_RKSA_EXadL_ZNS_18packed_silu_kernelIS3_EES4_S6_EELb1ELb0ELb0ELb0EEEvPS4_PS5_if,"axG",@progbits,_ZN4vllm18act_and_mul_kernelIN3c104HalfE7__half2TnPFT_RKS4_EXadL_ZNS_11silu_kernelIS2_EES4_S6_EETnPFT0_RKSA_EXadL_ZNS_18packed_silu_kernelIS3_EES4_S6_EELb1ELb0ELb0ELb0EEEvPS4_PS5_if,comdat
	.protected	_ZN4vllm18act_and_mul_kernelIN3c104HalfE7__half2TnPFT_RKS4_EXadL_ZNS_11silu_kernelIS2_EES4_S6_EETnPFT0_RKSA_EXadL_ZNS_18packed_silu_kernelIS3_EES4_S6_EELb1ELb0ELb0ELb0EEEvPS4_PS5_if ; -- Begin function _ZN4vllm18act_and_mul_kernelIN3c104HalfE7__half2TnPFT_RKS4_EXadL_ZNS_11silu_kernelIS2_EES4_S6_EETnPFT0_RKSA_EXadL_ZNS_18packed_silu_kernelIS3_EES4_S6_EELb1ELb0ELb0ELb0EEEvPS4_PS5_if
	.globl	_ZN4vllm18act_and_mul_kernelIN3c104HalfE7__half2TnPFT_RKS4_EXadL_ZNS_11silu_kernelIS2_EES4_S6_EETnPFT0_RKSA_EXadL_ZNS_18packed_silu_kernelIS3_EES4_S6_EELb1ELb0ELb0ELb0EEEvPS4_PS5_if
	.p2align	8
	.type	_ZN4vllm18act_and_mul_kernelIN3c104HalfE7__half2TnPFT_RKS4_EXadL_ZNS_11silu_kernelIS2_EES4_S6_EETnPFT0_RKSA_EXadL_ZNS_18packed_silu_kernelIS3_EES4_S6_EELb1ELb0ELb0ELb0EEEvPS4_PS5_if,@function
_ZN4vllm18act_and_mul_kernelIN3c104HalfE7__half2TnPFT_RKS4_EXadL_ZNS_11silu_kernelIS2_EES4_S6_EETnPFT0_RKSA_EXadL_ZNS_18packed_silu_kernelIS3_EES4_S6_EELb1ELb0ELb0ELb0EEEvPS4_PS5_if: ; @_ZN4vllm18act_and_mul_kernelIN3c104HalfE7__half2TnPFT_RKS4_EXadL_ZNS_11silu_kernelIS2_EES4_S6_EETnPFT0_RKSA_EXadL_ZNS_18packed_silu_kernelIS3_EES4_S6_EELb1ELb0ELb0ELb0EEEvPS4_PS5_if
; %bb.0:
	s_load_dword s12, s[4:5], 0x10
	s_waitcnt lgkmcnt(0)
	v_cmp_gt_i32_e32 vcc, s12, v0
	s_and_saveexec_b64 s[0:1], vcc
	s_cbranch_execz .LBB9_12
; %bb.1:
	s_load_dword s0, s[4:5], 0x24
	s_ashr_i32 s13, s12, 31
	v_mov_b32_e32 v2, s13
	v_mov_b32_e32 v1, 0
	s_mov_b32 s25, 0
	s_waitcnt lgkmcnt(0)
	s_and_b32 s24, s0, 0xffff
	v_add_co_u32_e32 v4, vcc, s24, v0
	v_addc_co_u32_e64 v5, s[0:1], 0, 0, vcc
	v_cmp_lt_i64_e32 vcc, s[12:13], v[4:5]
	v_cndmask_b32_e32 v6, v2, v5, vcc
	v_mov_b32_e32 v2, s12
	v_cndmask_b32_e32 v3, v2, v4, vcc
	v_cmp_gt_i64_e32 vcc, s[12:13], v[4:5]
	v_cndmask_b32_e64 v2, 0, 1, vcc
	v_add_co_u32_e32 v4, vcc, v4, v2
	v_addc_co_u32_e32 v5, vcc, 0, v5, vcc
	v_sub_co_u32_e32 v3, vcc, v3, v4
	v_subb_co_u32_e32 v5, vcc, v6, v5, vcc
	v_mov_b32_e32 v4, v1
	v_cmp_ne_u64_e32 vcc, 0, v[4:5]
                                        ; implicit-def: $vgpr6_vgpr7
	s_and_saveexec_b64 s[0:1], vcc
	s_xor_b64 s[2:3], exec, s[0:1]
	s_cbranch_execz .LBB9_3
; %bb.2:
	v_cvt_f32_u32_e32 v4, s24
	v_mov_b32_e32 v6, 0x4f800000
	s_sub_u32 s0, 0, s24
	s_subb_u32 s1, 0, 0
	v_mac_f32_e32 v4, 0, v6
	v_rcp_f32_e32 v4, v4
	v_mul_f32_e32 v4, 0x5f7ffffc, v4
	v_mul_f32_e32 v6, 0x2f800000, v4
	v_trunc_f32_e32 v6, v6
	v_madmk_f32 v4, v6, 0xcf800000, v4
	v_cvt_u32_f32_e32 v6, v6
	v_cvt_u32_f32_e32 v4, v4
	v_mul_lo_u32 v7, s0, v6
	v_mul_hi_u32 v9, s0, v4
	v_mul_lo_u32 v8, s1, v4
	v_add_u32_e32 v7, v9, v7
	v_mul_lo_u32 v10, s0, v4
	v_add_u32_e32 v7, v7, v8
	v_mul_hi_u32 v9, v4, v10
	v_mul_lo_u32 v11, v4, v7
	v_mul_hi_u32 v8, v4, v7
	v_add_co_u32_e32 v9, vcc, v9, v11
	v_addc_co_u32_e32 v8, vcc, 0, v8, vcc
	v_mul_hi_u32 v12, v6, v10
	v_mul_lo_u32 v10, v6, v10
	v_add_co_u32_e32 v9, vcc, v9, v10
	v_mul_hi_u32 v11, v6, v7
	v_addc_co_u32_e32 v8, vcc, v8, v12, vcc
	v_addc_co_u32_e32 v9, vcc, 0, v11, vcc
	v_mul_lo_u32 v7, v6, v7
	v_add_co_u32_e32 v7, vcc, v8, v7
	v_addc_co_u32_e32 v8, vcc, 0, v9, vcc
	v_add_co_u32_e32 v4, vcc, v4, v7
	v_addc_co_u32_e32 v6, vcc, v6, v8, vcc
	v_mul_lo_u32 v7, s0, v6
	v_mul_hi_u32 v8, s0, v4
	v_add_u32_e32 v7, v8, v7
	v_mul_lo_u32 v8, s1, v4
	v_add_u32_e32 v7, v7, v8
	v_mul_lo_u32 v9, s0, v4
	v_mul_hi_u32 v10, v6, v9
	v_mul_lo_u32 v11, v6, v9
	v_mul_lo_u32 v13, v4, v7
	v_mul_hi_u32 v9, v4, v9
	v_mul_hi_u32 v12, v4, v7
	v_add_co_u32_e32 v9, vcc, v9, v13
	v_addc_co_u32_e32 v12, vcc, 0, v12, vcc
	v_add_co_u32_e32 v9, vcc, v9, v11
	v_mul_hi_u32 v8, v6, v7
	v_addc_co_u32_e32 v9, vcc, v12, v10, vcc
	v_addc_co_u32_e32 v8, vcc, 0, v8, vcc
	v_mul_lo_u32 v7, v6, v7
	v_add_co_u32_e32 v7, vcc, v9, v7
	v_addc_co_u32_e32 v8, vcc, 0, v8, vcc
	v_add_co_u32_e32 v4, vcc, v4, v7
	v_addc_co_u32_e32 v8, vcc, v6, v8, vcc
	v_mad_u64_u32 v[6:7], s[0:1], v3, v8, 0
	v_mul_hi_u32 v9, v3, v4
	v_add_co_u32_e32 v10, vcc, v9, v6
	v_addc_co_u32_e32 v11, vcc, 0, v7, vcc
	v_mad_u64_u32 v[6:7], s[0:1], v5, v8, 0
	v_mad_u64_u32 v[8:9], s[0:1], v5, v4, 0
	v_add_co_u32_e32 v4, vcc, v10, v8
	v_addc_co_u32_e32 v4, vcc, v11, v9, vcc
	v_addc_co_u32_e32 v7, vcc, 0, v7, vcc
	v_add_co_u32_e32 v10, vcc, v4, v6
	v_addc_co_u32_e32 v11, vcc, 0, v7, vcc
	v_mad_u64_u32 v[6:7], s[0:1], s24, v10, 0
	v_mov_b32_e32 v4, v7
	v_mad_u64_u32 v[8:9], s[0:1], s24, v11, v[4:5]
	v_sub_co_u32_e32 v3, vcc, v3, v6
	v_subb_co_u32_e32 v4, vcc, v5, v8, vcc
	v_subrev_co_u32_e32 v5, vcc, s24, v3
	v_subbrev_co_u32_e32 v6, vcc, 0, v4, vcc
	v_cmp_le_u32_e32 vcc, s24, v5
	v_cndmask_b32_e64 v5, 0, -1, vcc
	v_cmp_eq_u32_e32 vcc, 0, v6
	v_cndmask_b32_e32 v5, -1, v5, vcc
	v_add_co_u32_e32 v6, vcc, 2, v10
	v_addc_co_u32_e32 v7, vcc, 0, v11, vcc
	v_add_co_u32_e32 v8, vcc, 1, v10
	v_cmp_le_u32_e64 s[0:1], s24, v3
	v_addc_co_u32_e32 v9, vcc, 0, v11, vcc
	v_cndmask_b32_e64 v3, 0, -1, s[0:1]
	v_cmp_eq_u32_e64 s[0:1], 0, v4
	v_cmp_ne_u32_e32 vcc, 0, v5
	v_cndmask_b32_e64 v3, -1, v3, s[0:1]
	v_cndmask_b32_e32 v5, v9, v7, vcc
	v_cmp_ne_u32_e64 s[0:1], 0, v3
	v_cndmask_b32_e32 v3, v8, v6, vcc
	v_cndmask_b32_e64 v7, v11, v5, s[0:1]
	v_cndmask_b32_e64 v6, v10, v3, s[0:1]
                                        ; implicit-def: $vgpr3
.LBB9_3:
	s_or_saveexec_b64 s[0:1], s[2:3]
	s_load_dwordx4 s[8:11], s[4:5], 0x0
	s_xor_b64 exec, exec, s[0:1]
	s_cbranch_execz .LBB9_5
; %bb.4:
	v_cvt_f32_u32_e32 v4, s24
	s_sub_i32 s2, 0, s24
	v_mov_b32_e32 v7, 0
	v_rcp_iflag_f32_e32 v4, v4
	v_mul_f32_e32 v4, 0x4f7ffffe, v4
	v_cvt_u32_f32_e32 v4, v4
	v_mul_lo_u32 v5, s2, v4
	v_mul_hi_u32 v5, v4, v5
	v_add_u32_e32 v4, v4, v5
	v_mul_hi_u32 v4, v3, v4
	v_mul_lo_u32 v5, v4, s24
	v_sub_u32_e32 v3, v3, v5
	v_add_u32_e32 v6, 1, v4
	v_subrev_u32_e32 v5, s24, v3
	v_cmp_le_u32_e32 vcc, s24, v3
	v_cndmask_b32_e32 v3, v3, v5, vcc
	v_cndmask_b32_e32 v4, v4, v6, vcc
	v_add_u32_e32 v5, 1, v4
	v_cmp_le_u32_e32 vcc, s24, v3
	v_cndmask_b32_e32 v6, v4, v5, vcc
.LBB9_5:
	s_or_b64 exec, exec, s[0:1]
	v_add_co_u32_e32 v2, vcc, v6, v2
	v_addc_co_u32_e32 v3, vcc, 0, v7, vcc
	v_add_co_u32_e32 v2, vcc, 1, v2
	v_addc_co_u32_e32 v3, vcc, 0, v3, vcc
	s_mul_i32 s14, s6, s12
	s_mov_b32 s17, 0
	v_cmp_lt_u64_e32 vcc, 3, v[2:3]
	v_cmp_eq_u16_e64 s[0:1], s24, 1
	s_lshl_b32 s16, s14, 1
	s_mov_b32 s15, s17
	s_and_b64 s[2:3], vcc, s[0:1]
	s_mov_b64 s[0:1], -1
	s_and_saveexec_b64 s[18:19], s[2:3]
	s_cbranch_execz .LBB9_9
; %bb.6:
	s_lshl_b64 s[0:1], s[16:17], 1
	s_waitcnt lgkmcnt(0)
	s_add_u32 s0, s10, s0
	v_lshlrev_b32_e32 v6, 1, v0
	s_addc_u32 s1, s11, s1
	v_mov_b32_e32 v7, s1
	v_add_co_u32_e32 v12, vcc, s0, v6
	v_addc_co_u32_e32 v13, vcc, 0, v7, vcc
	s_lshl_b64 s[0:1], s[12:13], 1
	s_lshl_b32 s26, s24, 3
	v_mov_b32_e32 v7, s1
	v_add_co_u32_e32 v14, vcc, s0, v12
	s_lshl_b64 s[0:1], s[14:15], 1
	s_add_u32 s0, s8, s0
	v_addc_co_u32_e32 v15, vcc, v13, v7, vcc
	s_addc_u32 s1, s9, s1
	v_and_b32_e32 v4, -4, v2
	v_mov_b32_e32 v5, v3
	v_mov_b32_e32 v7, s1
	v_add_co_u32_e32 v16, vcc, s0, v6
	v_addc_co_u32_e32 v17, vcc, 0, v7, vcc
	s_mov_b64 s[20:21], 0
	s_mov_b32 s27, 0x3fb8aa3b
	s_mov_b32 s28, 0x32a5705f
	;; [unrolled: 1-line block ×4, first 2 shown]
	v_mov_b32_e32 v18, 0x7f800000
	s_mov_b64 s[22:23], 0
	v_pk_mov_b32 v[6:7], v[4:5], v[4:5] op_sel:[0,1]
.LBB9_7:                                ; =>This Inner Loop Header: Depth=1
	v_add_co_u32_e64 v6, s[2:3], -4, v6
	v_addc_co_u32_e64 v7, s[2:3], -1, v7, s[2:3]
	v_mov_b32_e32 v11, s23
	v_add_co_u32_e64 v20, s[2:3], s22, v12
	v_add_co_u32_e32 v8, vcc, s22, v14
	v_addc_co_u32_e64 v21, s[2:3], v13, v11, s[2:3]
	v_addc_co_u32_e32 v9, vcc, v15, v11, vcc
	global_load_dwordx2 v[22:23], v[20:21], off
	global_load_dwordx2 v[24:25], v[8:9], off
	v_add_co_u32_e64 v10, s[0:1], s22, v16
	v_addc_co_u32_e64 v11, vcc, v17, v11, s[0:1]
	s_add_u32 s22, s22, s26
	s_addc_u32 s23, s23, 0
	v_cmp_eq_u64_e64 s[0:1], 0, v[6:7]
	s_or_b64 s[20:21], s[0:1], s[20:21]
	s_waitcnt vmcnt(1)
	v_cvt_f32_f16_e64 v8, -v23
	v_cvt_f32_f16_sdwa v9, -v23 dst_sel:DWORD dst_unused:UNUSED_PAD src0_sel:WORD_1
	v_cvt_f32_f16_e64 v20, -v22
	v_cvt_f32_f16_sdwa v21, -v22 dst_sel:DWORD dst_unused:UNUSED_PAD src0_sel:WORD_1
	v_mul_f32_e32 v29, 0x3fb8aa3b, v8
	v_mul_f32_e32 v30, 0x3fb8aa3b, v9
	v_fma_mix_f32 v33, -v23, s27, -v29 op_sel_hi:[1,0,0]
	v_rndne_f32_e32 v34, v29
	v_fma_mix_f32 v35, -v23, s27, -v30 op_sel:[1,0,0] op_sel_hi:[1,0,0]
	v_rndne_f32_e32 v36, v30
	v_cvt_f32_f16_sdwa v27, v23 dst_sel:DWORD dst_unused:UNUSED_PAD src0_sel:WORD_1
	v_cvt_f32_f16_e32 v28, v23
	v_mul_f32_e32 v31, 0x3fb8aa3b, v20
	v_mul_f32_e32 v32, 0x3fb8aa3b, v21
	v_fma_mix_f32 v33, -v23, s28, v33 op_sel_hi:[1,0,0]
	v_sub_f32_e32 v29, v29, v34
	v_fma_mix_f32 v23, -v23, s28, v35 op_sel:[1,0,0] op_sel_hi:[1,0,0]
	v_sub_f32_e32 v30, v30, v36
	v_fma_mix_f32 v37, -v22, s27, -v31 op_sel_hi:[1,0,0]
	v_rndne_f32_e32 v38, v31
	v_fma_mix_f32 v39, -v22, s27, -v32 op_sel:[1,0,0] op_sel_hi:[1,0,0]
	v_rndne_f32_e32 v40, v32
	v_add_f32_e32 v29, v29, v33
	v_add_f32_e32 v23, v30, v23
	v_cvt_f32_f16_sdwa v19, v22 dst_sel:DWORD dst_unused:UNUSED_PAD src0_sel:WORD_1
	v_cvt_f32_f16_e32 v26, v22
	v_cvt_i32_f32_e32 v34, v34
	v_cvt_i32_f32_e32 v35, v36
	v_fma_mix_f32 v36, -v22, s28, v37 op_sel_hi:[1,0,0]
	v_sub_f32_e32 v31, v31, v38
	v_fma_mix_f32 v22, -v22, s28, v39 op_sel:[1,0,0] op_sel_hi:[1,0,0]
	v_sub_f32_e32 v32, v32, v40
	v_exp_f32_e32 v29, v29
	v_exp_f32_e32 v23, v23
	v_add_f32_e32 v30, v31, v36
	v_add_f32_e32 v22, v32, v22
	v_cvt_i32_f32_e32 v37, v38
	v_cvt_i32_f32_e32 v38, v40
	v_exp_f32_e32 v30, v30
	v_exp_f32_e32 v22, v22
	v_ldexp_f32 v29, v29, v34
	v_ldexp_f32 v23, v23, v35
	v_cmp_ngt_f32_e32 vcc, s29, v9
	v_cmp_ngt_f32_e64 s[6:7], s29, v8
	v_cndmask_b32_e64 v29, 0, v29, s[6:7]
	v_cndmask_b32_e32 v23, 0, v23, vcc
	v_cmp_nlt_f32_e32 vcc, s30, v9
	v_cmp_nlt_f32_e64 s[6:7], s30, v8
	v_ldexp_f32 v30, v30, v37
	v_cmp_ngt_f32_e64 s[2:3], s29, v20
	v_ldexp_f32 v22, v22, v38
	v_cmp_ngt_f32_e64 s[4:5], s29, v21
	v_cndmask_b32_e64 v8, v18, v29, s[6:7]
	v_cndmask_b32_e32 v9, v18, v23, vcc
	v_cndmask_b32_e64 v30, 0, v30, s[2:3]
	v_cmp_nlt_f32_e64 s[2:3], s30, v20
	v_cndmask_b32_e64 v22, 0, v22, s[4:5]
	v_cmp_nlt_f32_e64 s[4:5], s30, v21
	v_pk_add_f32 v[8:9], v[8:9], 1.0 op_sel_hi:[1,0]
	v_cndmask_b32_e64 v20, v18, v30, s[2:3]
	v_cndmask_b32_e64 v21, v18, v22, s[4:5]
	v_div_scale_f32 v22, s[2:3], v8, v8, v28
	v_pk_add_f32 v[20:21], v[20:21], 1.0 op_sel_hi:[1,0]
	v_div_scale_f32 v29, s[2:3], v9, v9, v27
	v_rcp_f32_e32 v35, v22
	v_div_scale_f32 v31, s[4:5], v20, v20, v26
	v_rcp_f32_e32 v36, v29
	;; [unrolled: 2-line block ×3, first 2 shown]
	v_rcp_f32_e32 v38, v33
	v_fma_f32 v39, -v22, v35, 1.0
	v_div_scale_f32 v23, vcc, v28, v8, v28
	v_fma_f32 v40, -v29, v36, 1.0
	v_fmac_f32_e32 v35, v39, v35
	v_div_scale_f32 v30, s[2:3], v27, v9, v27
	v_fma_f32 v41, -v31, v37, 1.0
	v_fmac_f32_e32 v36, v40, v36
	v_mul_f32_e32 v39, v23, v35
	v_div_scale_f32 v32, s[4:5], v26, v20, v26
	v_fma_f32 v42, -v33, v38, 1.0
	v_fmac_f32_e32 v37, v41, v37
	v_mul_f32_e32 v40, v30, v36
	v_fma_f32 v43, -v22, v39, v23
	v_div_scale_f32 v34, s[6:7], v19, v21, v19
	v_fmac_f32_e32 v38, v42, v38
	v_mul_f32_e32 v41, v32, v37
	v_fma_f32 v44, -v29, v40, v30
	v_fmac_f32_e32 v39, v43, v35
	v_mul_f32_e32 v42, v34, v38
	v_fma_f32 v45, -v31, v41, v32
	v_fmac_f32_e32 v40, v44, v36
	v_fma_f32 v22, -v22, v39, v23
	v_fma_f32 v46, -v33, v42, v34
	v_fmac_f32_e32 v41, v45, v37
	v_fma_f32 v23, -v29, v40, v30
	v_div_fmas_f32 v22, v22, v35, v39
	s_mov_b64 vcc, s[2:3]
	v_fmac_f32_e32 v42, v46, v38
	v_fma_f32 v29, -v31, v41, v32
	v_div_fixup_f32 v8, v22, v8, v28
	v_div_fmas_f32 v22, v23, v36, v40
	s_mov_b64 vcc, s[4:5]
	v_fma_f32 v30, -v33, v42, v34
	v_div_fixup_f32 v9, v22, v9, v27
	v_div_fmas_f32 v22, v29, v37, v41
	s_mov_b64 vcc, s[6:7]
	v_div_fixup_f32 v20, v22, v20, v26
	v_div_fmas_f32 v22, v30, v38, v42
	v_cvt_f16_f32_e32 v8, v8
	v_cvt_f16_f32_e32 v9, v9
	v_div_fixup_f32 v19, v22, v21, v19
	v_cvt_f16_f32_e32 v20, v20
	v_cvt_f16_f32_e32 v19, v19
	v_pack_b32_f16 v8, v8, v9
	s_waitcnt vmcnt(0)
	v_pk_mul_f16 v9, v25, v8
	v_pack_b32_f16 v8, v20, v19
	v_pk_mul_f16 v8, v24, v8
	global_store_dwordx2 v[10:11], v[8:9], off
	s_andn2_b64 exec, exec, s[20:21]
	s_cbranch_execnz .LBB9_7
; %bb.8:
	s_or_b64 exec, exec, s[20:21]
	v_mad_u64_u32 v[0:1], s[0:1], v4, s24, v[0:1]
	v_mov_b32_e32 v6, v1
	v_mad_u64_u32 v[6:7], s[0:1], v5, s24, v[6:7]
	v_cmp_ne_u64_e32 vcc, v[2:3], v[4:5]
	v_mov_b32_e32 v1, v6
	s_orn2_b64 s[0:1], vcc, exec
.LBB9_9:
	s_or_b64 exec, exec, s[18:19]
	s_and_b64 exec, exec, s[0:1]
	s_cbranch_execz .LBB9_12
; %bb.10:
	s_lshl_b64 s[0:1], s[16:17], 1
	s_waitcnt lgkmcnt(0)
	s_add_u32 s4, s10, s0
	s_addc_u32 s10, s11, s1
	s_lshl_b64 s[0:1], s[12:13], 1
	s_add_u32 s5, s4, s0
	s_addc_u32 s11, s10, s1
	s_lshl_b64 s[0:1], s[14:15], 1
	s_add_u32 s6, s8, s0
	s_addc_u32 s0, s9, s1
	s_mov_b32 s1, 0
	v_lshlrev_b64 v[2:3], 1, v[0:1]
	s_lshl_b32 s7, s24, 1
	s_mov_b64 s[2:3], 0
	v_mov_b32_e32 v4, s10
	v_mov_b32_e32 v5, s11
	s_mov_b32 s8, 0x3fb8aa3b
	s_mov_b32 s9, 0x32a5705f
	;; [unrolled: 1-line block ×4, first 2 shown]
	v_mov_b32_e32 v6, 0x7f800000
	v_mov_b32_e32 v7, s0
	;; [unrolled: 1-line block ×4, first 2 shown]
.LBB9_11:                               ; =>This Inner Loop Header: Depth=1
	v_add_co_u32_e32 v10, vcc, s4, v2
	v_addc_co_u32_e32 v11, vcc, v4, v3, vcc
	global_load_ushort v12, v[10:11], off
	v_add_co_u32_e32 v10, vcc, s5, v2
	v_addc_co_u32_e32 v11, vcc, v5, v3, vcc
	global_load_ushort v13, v[10:11], off
	v_add_co_u32_e32 v10, vcc, s6, v2
	v_addc_co_u32_e32 v11, vcc, v7, v3, vcc
	v_add_co_u32_e32 v0, vcc, s24, v0
	v_addc_co_u32_e32 v1, vcc, v1, v8, vcc
	v_add_co_u32_e64 v2, s[0:1], s7, v2
	s_waitcnt vmcnt(1)
	v_cvt_f32_f16_e64 v14, -v12
	v_cvt_f32_f16_e32 v15, v12
	v_mul_f32_e32 v16, 0x3fb8aa3b, v14
	v_fma_mix_f32 v17, -v12, s8, -v16 op_sel_hi:[1,0,0]
	v_rndne_f32_e32 v18, v16
	v_fma_mix_f32 v12, -v12, s9, v17 op_sel_hi:[1,0,0]
	v_sub_f32_e32 v16, v16, v18
	v_add_f32_e32 v12, v16, v12
	v_cvt_i32_f32_e32 v17, v18
	v_exp_f32_e32 v12, v12
	v_cmp_ngt_f32_e32 vcc, s10, v14
	v_ldexp_f32 v12, v12, v17
	v_cndmask_b32_e32 v12, 0, v12, vcc
	v_cmp_nlt_f32_e32 vcc, s11, v14
	v_cndmask_b32_e32 v12, v6, v12, vcc
	v_add_f32_e32 v12, 1.0, v12
	v_div_scale_f32 v14, s[14:15], v12, v12, v15
	v_rcp_f32_e32 v16, v14
	v_div_scale_f32 v17, vcc, v15, v12, v15
	v_fma_f32 v18, -v14, v16, 1.0
	v_fmac_f32_e32 v16, v18, v16
	v_mul_f32_e32 v18, v17, v16
	v_fma_f32 v19, -v14, v18, v17
	v_fmac_f32_e32 v18, v19, v16
	v_fma_f32 v14, -v14, v18, v17
	v_div_fmas_f32 v14, v14, v16, v18
	v_div_fixup_f32 v12, v14, v12, v15
	v_cvt_f16_f32_e32 v12, v12
	v_addc_co_u32_e64 v3, vcc, v3, v9, s[0:1]
	v_cmp_le_i64_e32 vcc, s[12:13], v[0:1]
	s_or_b64 s[2:3], vcc, s[2:3]
	s_waitcnt vmcnt(0)
	v_mul_f16_e32 v12, v13, v12
	global_store_short v[10:11], v12, off
	s_andn2_b64 exec, exec, s[2:3]
	s_cbranch_execnz .LBB9_11
.LBB9_12:
	s_endpgm
	.section	.rodata,"a",@progbits
	.p2align	6, 0x0
	.amdhsa_kernel _ZN4vllm18act_and_mul_kernelIN3c104HalfE7__half2TnPFT_RKS4_EXadL_ZNS_11silu_kernelIS2_EES4_S6_EETnPFT0_RKSA_EXadL_ZNS_18packed_silu_kernelIS3_EES4_S6_EELb1ELb0ELb0ELb0EEEvPS4_PS5_if
		.amdhsa_group_segment_fixed_size 0
		.amdhsa_private_segment_fixed_size 0
		.amdhsa_kernarg_size 280
		.amdhsa_user_sgpr_count 6
		.amdhsa_user_sgpr_private_segment_buffer 1
		.amdhsa_user_sgpr_dispatch_ptr 0
		.amdhsa_user_sgpr_queue_ptr 0
		.amdhsa_user_sgpr_kernarg_segment_ptr 1
		.amdhsa_user_sgpr_dispatch_id 0
		.amdhsa_user_sgpr_flat_scratch_init 0
		.amdhsa_user_sgpr_kernarg_preload_length 0
		.amdhsa_user_sgpr_kernarg_preload_offset 0
		.amdhsa_user_sgpr_private_segment_size 0
		.amdhsa_uses_dynamic_stack 0
		.amdhsa_system_sgpr_private_segment_wavefront_offset 0
		.amdhsa_system_sgpr_workgroup_id_x 1
		.amdhsa_system_sgpr_workgroup_id_y 0
		.amdhsa_system_sgpr_workgroup_id_z 0
		.amdhsa_system_sgpr_workgroup_info 0
		.amdhsa_system_vgpr_workitem_id 0
		.amdhsa_next_free_vgpr 47
		.amdhsa_next_free_sgpr 31
		.amdhsa_accum_offset 48
		.amdhsa_reserve_vcc 1
		.amdhsa_reserve_flat_scratch 0
		.amdhsa_float_round_mode_32 0
		.amdhsa_float_round_mode_16_64 0
		.amdhsa_float_denorm_mode_32 3
		.amdhsa_float_denorm_mode_16_64 3
		.amdhsa_dx10_clamp 1
		.amdhsa_ieee_mode 1
		.amdhsa_fp16_overflow 0
		.amdhsa_tg_split 0
		.amdhsa_exception_fp_ieee_invalid_op 0
		.amdhsa_exception_fp_denorm_src 0
		.amdhsa_exception_fp_ieee_div_zero 0
		.amdhsa_exception_fp_ieee_overflow 0
		.amdhsa_exception_fp_ieee_underflow 0
		.amdhsa_exception_fp_ieee_inexact 0
		.amdhsa_exception_int_div_zero 0
	.end_amdhsa_kernel
	.section	.text._ZN4vllm18act_and_mul_kernelIN3c104HalfE7__half2TnPFT_RKS4_EXadL_ZNS_11silu_kernelIS2_EES4_S6_EETnPFT0_RKSA_EXadL_ZNS_18packed_silu_kernelIS3_EES4_S6_EELb1ELb0ELb0ELb0EEEvPS4_PS5_if,"axG",@progbits,_ZN4vllm18act_and_mul_kernelIN3c104HalfE7__half2TnPFT_RKS4_EXadL_ZNS_11silu_kernelIS2_EES4_S6_EETnPFT0_RKSA_EXadL_ZNS_18packed_silu_kernelIS3_EES4_S6_EELb1ELb0ELb0ELb0EEEvPS4_PS5_if,comdat
.Lfunc_end9:
	.size	_ZN4vllm18act_and_mul_kernelIN3c104HalfE7__half2TnPFT_RKS4_EXadL_ZNS_11silu_kernelIS2_EES4_S6_EETnPFT0_RKSA_EXadL_ZNS_18packed_silu_kernelIS3_EES4_S6_EELb1ELb0ELb0ELb0EEEvPS4_PS5_if, .Lfunc_end9-_ZN4vllm18act_and_mul_kernelIN3c104HalfE7__half2TnPFT_RKS4_EXadL_ZNS_11silu_kernelIS2_EES4_S6_EETnPFT0_RKSA_EXadL_ZNS_18packed_silu_kernelIS3_EES4_S6_EELb1ELb0ELb0ELb0EEEvPS4_PS5_if
                                        ; -- End function
	.section	.AMDGPU.csdata,"",@progbits
; Kernel info:
; codeLenInByte = 2284
; NumSgprs: 35
; NumVgprs: 47
; NumAgprs: 0
; TotalNumVgprs: 47
; ScratchSize: 0
; MemoryBound: 0
; FloatMode: 240
; IeeeMode: 1
; LDSByteSize: 0 bytes/workgroup (compile time only)
; SGPRBlocks: 4
; VGPRBlocks: 5
; NumSGPRsForWavesPerEU: 35
; NumVGPRsForWavesPerEU: 47
; AccumOffset: 48
; Occupancy: 8
; WaveLimiterHint : 0
; COMPUTE_PGM_RSRC2:SCRATCH_EN: 0
; COMPUTE_PGM_RSRC2:USER_SGPR: 6
; COMPUTE_PGM_RSRC2:TRAP_HANDLER: 0
; COMPUTE_PGM_RSRC2:TGID_X_EN: 1
; COMPUTE_PGM_RSRC2:TGID_Y_EN: 0
; COMPUTE_PGM_RSRC2:TGID_Z_EN: 0
; COMPUTE_PGM_RSRC2:TIDIG_COMP_CNT: 0
; COMPUTE_PGM_RSRC3_GFX90A:ACCUM_OFFSET: 11
; COMPUTE_PGM_RSRC3_GFX90A:TG_SPLIT: 0
	.section	.text._ZN4vllm18act_and_mul_kernelIN3c108BFloat16E15__hip_bfloat162TnPFT_RKS4_EXadL_ZNS_11silu_kernelIS2_EES4_S6_EETnPFT0_RKSA_EXadL_ZNS_18packed_silu_kernelIS3_EES4_S6_EELb1ELb0ELb0ELb0EEEvPS4_PS5_if,"axG",@progbits,_ZN4vllm18act_and_mul_kernelIN3c108BFloat16E15__hip_bfloat162TnPFT_RKS4_EXadL_ZNS_11silu_kernelIS2_EES4_S6_EETnPFT0_RKSA_EXadL_ZNS_18packed_silu_kernelIS3_EES4_S6_EELb1ELb0ELb0ELb0EEEvPS4_PS5_if,comdat
	.protected	_ZN4vllm18act_and_mul_kernelIN3c108BFloat16E15__hip_bfloat162TnPFT_RKS4_EXadL_ZNS_11silu_kernelIS2_EES4_S6_EETnPFT0_RKSA_EXadL_ZNS_18packed_silu_kernelIS3_EES4_S6_EELb1ELb0ELb0ELb0EEEvPS4_PS5_if ; -- Begin function _ZN4vllm18act_and_mul_kernelIN3c108BFloat16E15__hip_bfloat162TnPFT_RKS4_EXadL_ZNS_11silu_kernelIS2_EES4_S6_EETnPFT0_RKSA_EXadL_ZNS_18packed_silu_kernelIS3_EES4_S6_EELb1ELb0ELb0ELb0EEEvPS4_PS5_if
	.globl	_ZN4vllm18act_and_mul_kernelIN3c108BFloat16E15__hip_bfloat162TnPFT_RKS4_EXadL_ZNS_11silu_kernelIS2_EES4_S6_EETnPFT0_RKSA_EXadL_ZNS_18packed_silu_kernelIS3_EES4_S6_EELb1ELb0ELb0ELb0EEEvPS4_PS5_if
	.p2align	8
	.type	_ZN4vllm18act_and_mul_kernelIN3c108BFloat16E15__hip_bfloat162TnPFT_RKS4_EXadL_ZNS_11silu_kernelIS2_EES4_S6_EETnPFT0_RKSA_EXadL_ZNS_18packed_silu_kernelIS3_EES4_S6_EELb1ELb0ELb0ELb0EEEvPS4_PS5_if,@function
_ZN4vllm18act_and_mul_kernelIN3c108BFloat16E15__hip_bfloat162TnPFT_RKS4_EXadL_ZNS_11silu_kernelIS2_EES4_S6_EETnPFT0_RKSA_EXadL_ZNS_18packed_silu_kernelIS3_EES4_S6_EELb1ELb0ELb0ELb0EEEvPS4_PS5_if: ; @_ZN4vllm18act_and_mul_kernelIN3c108BFloat16E15__hip_bfloat162TnPFT_RKS4_EXadL_ZNS_11silu_kernelIS2_EES4_S6_EETnPFT0_RKSA_EXadL_ZNS_18packed_silu_kernelIS3_EES4_S6_EELb1ELb0ELb0ELb0EEEvPS4_PS5_if
; %bb.0:
	s_load_dword s12, s[4:5], 0x10
	s_waitcnt lgkmcnt(0)
	v_cmp_gt_i32_e32 vcc, s12, v0
	s_and_saveexec_b64 s[0:1], vcc
	s_cbranch_execz .LBB10_12
; %bb.1:
	s_load_dword s0, s[4:5], 0x24
	s_ashr_i32 s13, s12, 31
	v_mov_b32_e32 v2, s13
	v_mov_b32_e32 v1, 0
	s_mov_b32 s23, 0
	s_waitcnt lgkmcnt(0)
	s_and_b32 s22, s0, 0xffff
	v_add_co_u32_e32 v4, vcc, s22, v0
	v_addc_co_u32_e64 v5, s[0:1], 0, 0, vcc
	v_cmp_lt_i64_e32 vcc, s[12:13], v[4:5]
	v_cndmask_b32_e32 v6, v2, v5, vcc
	v_mov_b32_e32 v2, s12
	v_cndmask_b32_e32 v3, v2, v4, vcc
	v_cmp_gt_i64_e32 vcc, s[12:13], v[4:5]
	v_cndmask_b32_e64 v2, 0, 1, vcc
	v_add_co_u32_e32 v4, vcc, v4, v2
	v_addc_co_u32_e32 v5, vcc, 0, v5, vcc
	v_sub_co_u32_e32 v3, vcc, v3, v4
	v_subb_co_u32_e32 v5, vcc, v6, v5, vcc
	v_mov_b32_e32 v4, v1
	v_cmp_ne_u64_e32 vcc, 0, v[4:5]
                                        ; implicit-def: $vgpr6_vgpr7
	s_and_saveexec_b64 s[0:1], vcc
	s_xor_b64 s[2:3], exec, s[0:1]
	s_cbranch_execz .LBB10_3
; %bb.2:
	v_cvt_f32_u32_e32 v4, s22
	v_mov_b32_e32 v6, 0x4f800000
	s_sub_u32 s0, 0, s22
	s_subb_u32 s1, 0, 0
	v_mac_f32_e32 v4, 0, v6
	v_rcp_f32_e32 v4, v4
	v_mul_f32_e32 v4, 0x5f7ffffc, v4
	v_mul_f32_e32 v6, 0x2f800000, v4
	v_trunc_f32_e32 v6, v6
	v_madmk_f32 v4, v6, 0xcf800000, v4
	v_cvt_u32_f32_e32 v6, v6
	v_cvt_u32_f32_e32 v4, v4
	v_mul_lo_u32 v7, s0, v6
	v_mul_hi_u32 v9, s0, v4
	v_mul_lo_u32 v8, s1, v4
	v_add_u32_e32 v7, v9, v7
	v_mul_lo_u32 v10, s0, v4
	v_add_u32_e32 v7, v7, v8
	v_mul_hi_u32 v9, v4, v10
	v_mul_lo_u32 v11, v4, v7
	v_mul_hi_u32 v8, v4, v7
	v_add_co_u32_e32 v9, vcc, v9, v11
	v_addc_co_u32_e32 v8, vcc, 0, v8, vcc
	v_mul_hi_u32 v12, v6, v10
	v_mul_lo_u32 v10, v6, v10
	v_add_co_u32_e32 v9, vcc, v9, v10
	v_mul_hi_u32 v11, v6, v7
	v_addc_co_u32_e32 v8, vcc, v8, v12, vcc
	v_addc_co_u32_e32 v9, vcc, 0, v11, vcc
	v_mul_lo_u32 v7, v6, v7
	v_add_co_u32_e32 v7, vcc, v8, v7
	v_addc_co_u32_e32 v8, vcc, 0, v9, vcc
	v_add_co_u32_e32 v4, vcc, v4, v7
	v_addc_co_u32_e32 v6, vcc, v6, v8, vcc
	v_mul_lo_u32 v7, s0, v6
	v_mul_hi_u32 v8, s0, v4
	v_add_u32_e32 v7, v8, v7
	v_mul_lo_u32 v8, s1, v4
	v_add_u32_e32 v7, v7, v8
	v_mul_lo_u32 v9, s0, v4
	v_mul_hi_u32 v10, v6, v9
	v_mul_lo_u32 v11, v6, v9
	v_mul_lo_u32 v13, v4, v7
	v_mul_hi_u32 v9, v4, v9
	v_mul_hi_u32 v12, v4, v7
	v_add_co_u32_e32 v9, vcc, v9, v13
	v_addc_co_u32_e32 v12, vcc, 0, v12, vcc
	v_add_co_u32_e32 v9, vcc, v9, v11
	v_mul_hi_u32 v8, v6, v7
	v_addc_co_u32_e32 v9, vcc, v12, v10, vcc
	v_addc_co_u32_e32 v8, vcc, 0, v8, vcc
	v_mul_lo_u32 v7, v6, v7
	v_add_co_u32_e32 v7, vcc, v9, v7
	v_addc_co_u32_e32 v8, vcc, 0, v8, vcc
	v_add_co_u32_e32 v4, vcc, v4, v7
	v_addc_co_u32_e32 v8, vcc, v6, v8, vcc
	v_mad_u64_u32 v[6:7], s[0:1], v3, v8, 0
	v_mul_hi_u32 v9, v3, v4
	v_add_co_u32_e32 v10, vcc, v9, v6
	v_addc_co_u32_e32 v11, vcc, 0, v7, vcc
	v_mad_u64_u32 v[6:7], s[0:1], v5, v8, 0
	v_mad_u64_u32 v[8:9], s[0:1], v5, v4, 0
	v_add_co_u32_e32 v4, vcc, v10, v8
	v_addc_co_u32_e32 v4, vcc, v11, v9, vcc
	v_addc_co_u32_e32 v7, vcc, 0, v7, vcc
	v_add_co_u32_e32 v10, vcc, v4, v6
	v_addc_co_u32_e32 v11, vcc, 0, v7, vcc
	v_mad_u64_u32 v[6:7], s[0:1], s22, v10, 0
	v_mov_b32_e32 v4, v7
	v_mad_u64_u32 v[8:9], s[0:1], s22, v11, v[4:5]
	v_sub_co_u32_e32 v3, vcc, v3, v6
	v_subb_co_u32_e32 v4, vcc, v5, v8, vcc
	v_subrev_co_u32_e32 v5, vcc, s22, v3
	v_subbrev_co_u32_e32 v6, vcc, 0, v4, vcc
	v_cmp_le_u32_e32 vcc, s22, v5
	v_cndmask_b32_e64 v5, 0, -1, vcc
	v_cmp_eq_u32_e32 vcc, 0, v6
	v_cndmask_b32_e32 v5, -1, v5, vcc
	v_add_co_u32_e32 v6, vcc, 2, v10
	v_addc_co_u32_e32 v7, vcc, 0, v11, vcc
	v_add_co_u32_e32 v8, vcc, 1, v10
	v_cmp_le_u32_e64 s[0:1], s22, v3
	v_addc_co_u32_e32 v9, vcc, 0, v11, vcc
	v_cndmask_b32_e64 v3, 0, -1, s[0:1]
	v_cmp_eq_u32_e64 s[0:1], 0, v4
	v_cmp_ne_u32_e32 vcc, 0, v5
	v_cndmask_b32_e64 v3, -1, v3, s[0:1]
	v_cndmask_b32_e32 v5, v9, v7, vcc
	v_cmp_ne_u32_e64 s[0:1], 0, v3
	v_cndmask_b32_e32 v3, v8, v6, vcc
	v_cndmask_b32_e64 v7, v11, v5, s[0:1]
	v_cndmask_b32_e64 v6, v10, v3, s[0:1]
                                        ; implicit-def: $vgpr3
.LBB10_3:
	s_or_saveexec_b64 s[0:1], s[2:3]
	s_load_dwordx4 s[8:11], s[4:5], 0x0
	s_xor_b64 exec, exec, s[0:1]
	s_cbranch_execz .LBB10_5
; %bb.4:
	v_cvt_f32_u32_e32 v4, s22
	s_sub_i32 s2, 0, s22
	v_mov_b32_e32 v7, 0
	v_rcp_iflag_f32_e32 v4, v4
	v_mul_f32_e32 v4, 0x4f7ffffe, v4
	v_cvt_u32_f32_e32 v4, v4
	v_mul_lo_u32 v5, s2, v4
	v_mul_hi_u32 v5, v4, v5
	v_add_u32_e32 v4, v4, v5
	v_mul_hi_u32 v4, v3, v4
	v_mul_lo_u32 v5, v4, s22
	v_sub_u32_e32 v3, v3, v5
	v_add_u32_e32 v6, 1, v4
	v_subrev_u32_e32 v5, s22, v3
	v_cmp_le_u32_e32 vcc, s22, v3
	v_cndmask_b32_e32 v3, v3, v5, vcc
	v_cndmask_b32_e32 v4, v4, v6, vcc
	v_add_u32_e32 v5, 1, v4
	v_cmp_le_u32_e32 vcc, s22, v3
	v_cndmask_b32_e32 v6, v4, v5, vcc
.LBB10_5:
	s_or_b64 exec, exec, s[0:1]
	v_add_co_u32_e32 v2, vcc, v6, v2
	v_addc_co_u32_e32 v3, vcc, 0, v7, vcc
	v_add_co_u32_e32 v2, vcc, 1, v2
	v_addc_co_u32_e32 v3, vcc, 0, v3, vcc
	s_mul_i32 s6, s6, s12
	s_mov_b32 s15, 0
	v_cmp_lt_u64_e32 vcc, 3, v[2:3]
	v_cmp_eq_u16_e64 s[0:1], s22, 1
	s_lshl_b32 s14, s6, 1
	s_mov_b32 s7, s15
	s_and_b64 s[2:3], vcc, s[0:1]
	s_mov_b64 s[0:1], -1
	s_and_saveexec_b64 s[16:17], s[2:3]
	s_cbranch_execz .LBB10_9
; %bb.6:
	s_lshl_b64 s[0:1], s[14:15], 1
	s_waitcnt lgkmcnt(0)
	s_add_u32 s0, s10, s0
	v_lshlrev_b32_e32 v6, 1, v0
	s_addc_u32 s1, s11, s1
	v_mov_b32_e32 v7, s1
	v_add_co_u32_e32 v14, vcc, s0, v6
	v_addc_co_u32_e32 v15, vcc, 0, v7, vcc
	s_lshl_b64 s[0:1], s[12:13], 1
	s_lshl_b32 s24, s22, 3
	v_mov_b32_e32 v7, s1
	v_add_co_u32_e32 v16, vcc, s0, v14
	s_lshl_b64 s[0:1], s[6:7], 1
	s_add_u32 s0, s8, s0
	v_addc_co_u32_e32 v17, vcc, v15, v7, vcc
	s_addc_u32 s1, s9, s1
	v_and_b32_e32 v4, -4, v2
	v_mov_b32_e32 v5, v3
	v_mov_b32_e32 v7, s1
	v_add_co_u32_e32 v18, vcc, s0, v6
	v_addc_co_u32_e32 v19, vcc, 0, v7, vcc
	s_mov_b64 s[18:19], 0
	s_movk_i32 s25, 0x7fff
	v_mov_b32_e32 v20, 0x7fc00000
	s_mov_b32 s26, 0x3fb8aa3b
	s_mov_b32 s27, 0xc2ce8ed0
	;; [unrolled: 1-line block ×3, first 2 shown]
	v_mov_b32_e32 v21, 0x7f800000
	v_mov_b32_e32 v22, 0x7fc0
	s_mov_b32 s29, 0x5040100
	s_mov_b64 s[20:21], 0
	v_pk_mov_b32 v[6:7], v[4:5], v[4:5] op_sel:[0,1]
.LBB10_7:                               ; =>This Inner Loop Header: Depth=1
	v_add_co_u32_e64 v6, s[2:3], -4, v6
	v_addc_co_u32_e64 v7, s[2:3], -1, v7, s[2:3]
	v_mov_b32_e32 v11, s21
	v_add_co_u32_e64 v12, s[2:3], s20, v14
	v_add_co_u32_e32 v8, vcc, s20, v16
	v_addc_co_u32_e64 v13, s[2:3], v15, v11, s[2:3]
	v_addc_co_u32_e32 v9, vcc, v17, v11, vcc
	global_load_dwordx2 v[24:25], v[12:13], off
	global_load_dwordx2 v[26:27], v[8:9], off
	v_add_co_u32_e64 v10, s[0:1], s20, v18
	s_add_u32 s20, s20, s24
	v_addc_co_u32_e64 v11, vcc, v19, v11, s[0:1]
	s_addc_u32 s21, s21, 0
	v_cmp_eq_u64_e32 vcc, 0, v[6:7]
	s_or_b64 s[18:19], vcc, s[18:19]
	s_waitcnt vmcnt(1)
	v_and_b32_e32 v23, 0xffff0000, v25
	v_lshlrev_b32_e32 v28, 16, v25
	v_and_b32_e32 v29, 0xffff0000, v24
	v_lshlrev_b32_e32 v30, 16, v24
	s_waitcnt vmcnt(0)
	v_and_b32_e32 v13, 0xffff0000, v27
	v_lshlrev_b32_e32 v12, 16, v27
	v_and_b32_e32 v9, 0xffff0000, v26
	v_lshlrev_b32_e32 v8, 16, v26
	v_xor_b32_e32 v26, 0x80000000, v28
	v_xor_b32_e32 v27, 0x80000000, v23
	;; [unrolled: 1-line block ×4, first 2 shown]
	v_bfe_u32 v31, v27, 16, 1
	v_bfe_u32 v32, v26, 16, 1
	;; [unrolled: 1-line block ×4, first 2 shown]
	v_add3_u32 v26, v26, v32, s25
	v_add3_u32 v27, v27, v31, s25
	v_add3_u32 v24, v24, v34, s25
	v_add3_u32 v25, v25, v33, s25
	v_and_b32_e32 v27, 0xffff0000, v27
	v_and_b32_e32 v26, 0xffff0000, v26
	v_cmp_o_f32_e64 s[0:1], v28, v28
	v_cmp_o_f32_e64 s[2:3], v23, v23
	v_and_b32_e32 v25, 0xffff0000, v25
	v_and_b32_e32 v24, 0xffff0000, v24
	v_cmp_o_f32_e32 vcc, v29, v29
	v_cmp_o_f32_e64 s[4:5], v30, v30
	v_cndmask_b32_e64 v26, v20, v26, s[0:1]
	v_cndmask_b32_e64 v27, v20, v27, s[2:3]
	v_cndmask_b32_e64 v24, v20, v24, s[4:5]
	v_cndmask_b32_e32 v25, v20, v25, vcc
	v_mul_f32_e32 v31, 0x3fb8aa3b, v27
	v_mul_f32_e32 v32, 0x3fb8aa3b, v26
	;; [unrolled: 1-line block ×4, first 2 shown]
	v_fma_f32 v35, v27, s26, -v31
	v_rndne_f32_e32 v36, v31
	v_fma_f32 v37, v26, s26, -v32
	v_rndne_f32_e32 v38, v32
	;; [unrolled: 2-line block ×4, first 2 shown]
	v_fmac_f32_e32 v35, 0x32a5705f, v27
	v_sub_f32_e32 v31, v31, v36
	v_fmac_f32_e32 v37, 0x32a5705f, v26
	v_sub_f32_e32 v32, v32, v38
	;; [unrolled: 2-line block ×4, first 2 shown]
	v_add_f32_e32 v31, v31, v35
	v_add_f32_e32 v32, v32, v37
	v_cvt_i32_f32_e32 v36, v36
	v_cvt_i32_f32_e32 v38, v38
	v_add_f32_e32 v33, v33, v39
	v_add_f32_e32 v34, v34, v41
	v_exp_f32_e32 v31, v31
	v_exp_f32_e32 v32, v32
	v_cvt_i32_f32_e32 v40, v40
	v_cvt_i32_f32_e32 v42, v42
	v_exp_f32_e32 v33, v33
	v_exp_f32_e32 v34, v34
	v_ldexp_f32 v31, v31, v36
	v_ldexp_f32 v32, v32, v38
	v_cmp_ngt_f32_e32 vcc, s27, v26
	v_cmp_ngt_f32_e64 s[4:5], s27, v27
	v_ldexp_f32 v33, v33, v40
	v_cmp_ngt_f32_e64 s[0:1], s27, v25
	v_ldexp_f32 v34, v34, v42
	v_cmp_ngt_f32_e64 s[2:3], s27, v24
	v_cndmask_b32_e64 v31, 0, v31, s[4:5]
	v_cndmask_b32_e32 v32, 0, v32, vcc
	v_cmp_nlt_f32_e32 vcc, s28, v26
	v_cmp_nlt_f32_e64 s[4:5], s28, v27
	v_cndmask_b32_e64 v26, 0, v33, s[0:1]
	v_cmp_nlt_f32_e64 s[0:1], s28, v25
	v_cndmask_b32_e64 v33, 0, v34, s[2:3]
	;; [unrolled: 2-line block ×3, first 2 shown]
	v_cndmask_b32_e32 v24, v21, v32, vcc
	v_pk_add_f32 v[24:25], v[24:25], 1.0 op_sel_hi:[1,0]
	v_cndmask_b32_e64 v27, v21, v26, s[0:1]
	v_cndmask_b32_e64 v26, v21, v33, s[2:3]
	v_div_scale_f32 v31, s[0:1], v25, v25, v23
	v_pk_add_f32 v[26:27], v[26:27], 1.0 op_sel_hi:[1,0]
	v_div_scale_f32 v33, s[0:1], v24, v24, v28
	v_rcp_f32_e32 v39, v31
	v_div_scale_f32 v35, s[2:3], v27, v27, v29
	v_rcp_f32_e32 v40, v33
	;; [unrolled: 2-line block ×3, first 2 shown]
	v_rcp_f32_e32 v42, v37
	v_fma_f32 v43, -v31, v39, 1.0
	v_div_scale_f32 v32, vcc, v23, v25, v23
	v_fma_f32 v44, -v33, v40, 1.0
	v_fmac_f32_e32 v39, v43, v39
	v_div_scale_f32 v34, s[0:1], v28, v24, v28
	v_fma_f32 v45, -v35, v41, 1.0
	v_fmac_f32_e32 v40, v44, v40
	v_mul_f32_e32 v43, v32, v39
	v_div_scale_f32 v36, s[2:3], v29, v27, v29
	v_fma_f32 v46, -v37, v42, 1.0
	v_fmac_f32_e32 v41, v45, v41
	v_mul_f32_e32 v44, v34, v40
	v_fma_f32 v47, -v31, v43, v32
	v_div_scale_f32 v38, s[4:5], v30, v26, v30
	v_fmac_f32_e32 v42, v46, v42
	v_mul_f32_e32 v45, v36, v41
	v_fma_f32 v48, -v33, v44, v34
	v_fmac_f32_e32 v43, v47, v39
	v_mul_f32_e32 v46, v38, v42
	v_fma_f32 v49, -v35, v45, v36
	v_fmac_f32_e32 v44, v48, v40
	v_fma_f32 v31, -v31, v43, v32
	v_fma_f32 v50, -v37, v46, v38
	v_fmac_f32_e32 v45, v49, v41
	v_fma_f32 v32, -v33, v44, v34
	v_div_fmas_f32 v31, v31, v39, v43
	s_mov_b64 vcc, s[0:1]
	v_fmac_f32_e32 v46, v50, v42
	v_fma_f32 v33, -v35, v45, v36
	v_div_fixup_f32 v23, v31, v25, v23
	v_div_fmas_f32 v25, v32, v40, v44
	s_mov_b64 vcc, s[2:3]
	v_fma_f32 v34, -v37, v46, v38
	v_div_fixup_f32 v24, v25, v24, v28
	v_div_fmas_f32 v25, v33, v41, v45
	v_bfe_u32 v28, v23, 16, 1
	s_mov_b64 vcc, s[4:5]
	v_div_fixup_f32 v27, v25, v27, v29
	v_div_fmas_f32 v25, v34, v42, v46
	v_bfe_u32 v29, v24, 16, 1
	v_add3_u32 v28, v23, v28, s25
	v_div_fixup_f32 v26, v25, v26, v30
	v_bfe_u32 v25, v27, 16, 1
	v_add3_u32 v29, v24, v29, s25
	v_and_b32_e32 v28, 0xffff0000, v28
	v_cmp_o_f32_e32 vcc, v23, v23
	v_bfe_u32 v23, v26, 16, 1
	v_add3_u32 v30, v27, v25, s25
	v_and_b32_e32 v29, 0xffff0000, v29
	v_cndmask_b32_e32 v25, v20, v28, vcc
	v_cmp_o_f32_e32 vcc, v24, v24
	v_add3_u32 v23, v26, v23, s25
	v_and_b32_e32 v28, 0xffff0000, v30
	v_cndmask_b32_e32 v24, v20, v29, vcc
	v_cmp_o_f32_e32 vcc, v27, v27
	v_and_b32_e32 v23, 0xffff0000, v23
	v_cndmask_b32_e32 v27, v20, v28, vcc
	v_cmp_o_f32_e32 vcc, v26, v26
	v_pk_mul_f32 v[12:13], v[24:25], v[12:13]
	v_cndmask_b32_e32 v26, v20, v23, vcc
	v_bfe_u32 v23, v12, 16, 1
	v_bfe_u32 v24, v13, 16, 1
	v_pk_mul_f32 v[8:9], v[26:27], v[8:9]
	v_add3_u32 v24, v13, v24, s25
	v_add3_u32 v23, v12, v23, s25
	v_bfe_u32 v25, v8, 16, 1
	v_bfe_u32 v26, v9, 16, 1
	v_lshrrev_b32_e32 v23, 16, v23
	v_lshrrev_b32_e32 v24, 16, v24
	v_cmp_o_f32_e32 vcc, v13, v13
	v_cmp_o_f32_e64 s[0:1], v12, v12
	v_add3_u32 v12, v9, v26, s25
	v_add3_u32 v13, v8, v25, s25
	v_cndmask_b32_e64 v23, v22, v23, s[0:1]
	v_cndmask_b32_e32 v24, v22, v24, vcc
	v_lshrrev_b32_e32 v13, 16, v13
	v_lshrrev_b32_e32 v12, 16, v12
	v_cmp_o_f32_e32 vcc, v9, v9
	v_cmp_o_f32_e64 s[0:1], v8, v8
	v_cndmask_b32_e64 v8, v22, v13, s[0:1]
	v_cndmask_b32_e32 v12, v22, v12, vcc
	v_perm_b32 v9, v24, v23, s29
	v_perm_b32 v8, v12, v8, s29
	global_store_dwordx2 v[10:11], v[8:9], off
	s_andn2_b64 exec, exec, s[18:19]
	s_cbranch_execnz .LBB10_7
; %bb.8:
	s_or_b64 exec, exec, s[18:19]
	v_mad_u64_u32 v[0:1], s[0:1], v4, s22, v[0:1]
	v_mov_b32_e32 v6, v1
	v_mad_u64_u32 v[6:7], s[0:1], v5, s22, v[6:7]
	v_cmp_ne_u64_e32 vcc, v[2:3], v[4:5]
	v_mov_b32_e32 v1, v6
	s_orn2_b64 s[0:1], vcc, exec
.LBB10_9:
	s_or_b64 exec, exec, s[16:17]
	s_and_b64 exec, exec, s[0:1]
	s_cbranch_execz .LBB10_12
; %bb.10:
	s_lshl_b64 s[0:1], s[14:15], 1
	s_waitcnt lgkmcnt(0)
	s_add_u32 s2, s10, s0
	s_addc_u32 s10, s11, s1
	s_lshl_b64 s[0:1], s[12:13], 1
	s_add_u32 s3, s2, s0
	s_addc_u32 s11, s10, s1
	s_lshl_b64 s[0:1], s[6:7], 1
	s_add_u32 s4, s8, s0
	s_addc_u32 s14, s9, s1
	s_mov_b32 s15, 0
	v_lshlrev_b64 v[2:3], 1, v[0:1]
	s_lshl_b32 s5, s22, 1
	s_mov_b64 s[0:1], 0
	v_mov_b32_e32 v4, s10
	v_mov_b32_e32 v5, s11
	s_movk_i32 s6, 0x7fff
	v_mov_b32_e32 v6, 0x7fc00000
	s_mov_b32 s7, 0x3fb8aa3b
	s_mov_b32 s8, 0xc2ce8ed0
	;; [unrolled: 1-line block ×3, first 2 shown]
	v_mov_b32_e32 v7, 0x7f800000
	v_mov_b32_e32 v8, 0x7fc0
	;; [unrolled: 1-line block ×5, first 2 shown]
.LBB10_11:                              ; =>This Inner Loop Header: Depth=1
	v_add_co_u32_e32 v12, vcc, s2, v2
	v_addc_co_u32_e32 v13, vcc, v4, v3, vcc
	v_add_co_u32_e32 v14, vcc, s3, v2
	v_addc_co_u32_e32 v15, vcc, v5, v3, vcc
	global_load_ushort v16, v[12:13], off
	global_load_ushort v17, v[14:15], off
	v_add_co_u32_e32 v12, vcc, s4, v2
	v_addc_co_u32_e32 v13, vcc, v9, v3, vcc
	v_add_co_u32_e32 v0, vcc, s22, v0
	v_addc_co_u32_e32 v1, vcc, v1, v10, vcc
	v_add_co_u32_e32 v2, vcc, s5, v2
	v_addc_co_u32_e32 v3, vcc, v3, v11, vcc
	v_cmp_le_i64_e32 vcc, s[12:13], v[0:1]
	s_or_b64 s[0:1], vcc, s[0:1]
	s_waitcnt vmcnt(1)
	v_lshlrev_b32_e32 v14, 16, v16
	v_xor_b32_e32 v16, 0x80000000, v14
	s_waitcnt vmcnt(0)
	v_lshlrev_b32_e32 v15, 16, v17
	v_bfe_u32 v17, v16, 16, 1
	v_add3_u32 v16, v16, v17, s6
	v_and_b32_e32 v16, 0xffff0000, v16
	v_cmp_o_f32_e32 vcc, v14, v14
	v_cndmask_b32_e32 v16, v6, v16, vcc
	v_mul_f32_e32 v17, 0x3fb8aa3b, v16
	v_fma_f32 v18, v16, s7, -v17
	v_rndne_f32_e32 v19, v17
	v_fmac_f32_e32 v18, 0x32a5705f, v16
	v_sub_f32_e32 v17, v17, v19
	v_add_f32_e32 v17, v17, v18
	v_cvt_i32_f32_e32 v19, v19
	v_exp_f32_e32 v17, v17
	v_cmp_ngt_f32_e32 vcc, s8, v16
	v_ldexp_f32 v17, v17, v19
	v_cndmask_b32_e32 v17, 0, v17, vcc
	v_cmp_nlt_f32_e32 vcc, s9, v16
	v_cndmask_b32_e32 v16, v7, v17, vcc
	v_add_f32_e32 v16, 1.0, v16
	v_div_scale_f32 v17, s[10:11], v16, v16, v14
	v_rcp_f32_e32 v19, v17
	v_div_scale_f32 v18, vcc, v14, v16, v14
	v_fma_f32 v20, -v17, v19, 1.0
	v_fmac_f32_e32 v19, v20, v19
	v_mul_f32_e32 v20, v18, v19
	v_fma_f32 v21, -v17, v20, v18
	v_fmac_f32_e32 v20, v21, v19
	v_fma_f32 v17, -v17, v20, v18
	v_div_fmas_f32 v17, v17, v19, v20
	v_div_fixup_f32 v14, v17, v16, v14
	v_bfe_u32 v16, v14, 16, 1
	v_add3_u32 v16, v14, v16, s6
	v_and_b32_e32 v16, 0xffff0000, v16
	v_cmp_o_f32_e32 vcc, v14, v14
	v_cndmask_b32_e32 v14, v6, v16, vcc
	v_mul_f32_e32 v14, v14, v15
	v_bfe_u32 v15, v14, 16, 1
	v_add3_u32 v15, v14, v15, s6
	v_lshrrev_b32_e32 v15, 16, v15
	v_cmp_o_f32_e32 vcc, v14, v14
	v_cndmask_b32_e32 v14, v8, v15, vcc
	global_store_short v[12:13], v14, off
	s_andn2_b64 exec, exec, s[0:1]
	s_cbranch_execnz .LBB10_11
.LBB10_12:
	s_endpgm
	.section	.rodata,"a",@progbits
	.p2align	6, 0x0
	.amdhsa_kernel _ZN4vllm18act_and_mul_kernelIN3c108BFloat16E15__hip_bfloat162TnPFT_RKS4_EXadL_ZNS_11silu_kernelIS2_EES4_S6_EETnPFT0_RKSA_EXadL_ZNS_18packed_silu_kernelIS3_EES4_S6_EELb1ELb0ELb0ELb0EEEvPS4_PS5_if
		.amdhsa_group_segment_fixed_size 0
		.amdhsa_private_segment_fixed_size 0
		.amdhsa_kernarg_size 280
		.amdhsa_user_sgpr_count 6
		.amdhsa_user_sgpr_private_segment_buffer 1
		.amdhsa_user_sgpr_dispatch_ptr 0
		.amdhsa_user_sgpr_queue_ptr 0
		.amdhsa_user_sgpr_kernarg_segment_ptr 1
		.amdhsa_user_sgpr_dispatch_id 0
		.amdhsa_user_sgpr_flat_scratch_init 0
		.amdhsa_user_sgpr_kernarg_preload_length 0
		.amdhsa_user_sgpr_kernarg_preload_offset 0
		.amdhsa_user_sgpr_private_segment_size 0
		.amdhsa_uses_dynamic_stack 0
		.amdhsa_system_sgpr_private_segment_wavefront_offset 0
		.amdhsa_system_sgpr_workgroup_id_x 1
		.amdhsa_system_sgpr_workgroup_id_y 0
		.amdhsa_system_sgpr_workgroup_id_z 0
		.amdhsa_system_sgpr_workgroup_info 0
		.amdhsa_system_vgpr_workitem_id 0
		.amdhsa_next_free_vgpr 51
		.amdhsa_next_free_sgpr 30
		.amdhsa_accum_offset 52
		.amdhsa_reserve_vcc 1
		.amdhsa_reserve_flat_scratch 0
		.amdhsa_float_round_mode_32 0
		.amdhsa_float_round_mode_16_64 0
		.amdhsa_float_denorm_mode_32 3
		.amdhsa_float_denorm_mode_16_64 3
		.amdhsa_dx10_clamp 1
		.amdhsa_ieee_mode 1
		.amdhsa_fp16_overflow 0
		.amdhsa_tg_split 0
		.amdhsa_exception_fp_ieee_invalid_op 0
		.amdhsa_exception_fp_denorm_src 0
		.amdhsa_exception_fp_ieee_div_zero 0
		.amdhsa_exception_fp_ieee_overflow 0
		.amdhsa_exception_fp_ieee_underflow 0
		.amdhsa_exception_fp_ieee_inexact 0
		.amdhsa_exception_int_div_zero 0
	.end_amdhsa_kernel
	.section	.text._ZN4vllm18act_and_mul_kernelIN3c108BFloat16E15__hip_bfloat162TnPFT_RKS4_EXadL_ZNS_11silu_kernelIS2_EES4_S6_EETnPFT0_RKSA_EXadL_ZNS_18packed_silu_kernelIS3_EES4_S6_EELb1ELb0ELb0ELb0EEEvPS4_PS5_if,"axG",@progbits,_ZN4vllm18act_and_mul_kernelIN3c108BFloat16E15__hip_bfloat162TnPFT_RKS4_EXadL_ZNS_11silu_kernelIS2_EES4_S6_EETnPFT0_RKSA_EXadL_ZNS_18packed_silu_kernelIS3_EES4_S6_EELb1ELb0ELb0ELb0EEEvPS4_PS5_if,comdat
.Lfunc_end10:
	.size	_ZN4vllm18act_and_mul_kernelIN3c108BFloat16E15__hip_bfloat162TnPFT_RKS4_EXadL_ZNS_11silu_kernelIS2_EES4_S6_EETnPFT0_RKSA_EXadL_ZNS_18packed_silu_kernelIS3_EES4_S6_EELb1ELb0ELb0ELb0EEEvPS4_PS5_if, .Lfunc_end10-_ZN4vllm18act_and_mul_kernelIN3c108BFloat16E15__hip_bfloat162TnPFT_RKS4_EXadL_ZNS_11silu_kernelIS2_EES4_S6_EETnPFT0_RKSA_EXadL_ZNS_18packed_silu_kernelIS3_EES4_S6_EELb1ELb0ELb0ELb0EEEvPS4_PS5_if
                                        ; -- End function
	.section	.AMDGPU.csdata,"",@progbits
; Kernel info:
; codeLenInByte = 2812
; NumSgprs: 34
; NumVgprs: 51
; NumAgprs: 0
; TotalNumVgprs: 51
; ScratchSize: 0
; MemoryBound: 0
; FloatMode: 240
; IeeeMode: 1
; LDSByteSize: 0 bytes/workgroup (compile time only)
; SGPRBlocks: 4
; VGPRBlocks: 6
; NumSGPRsForWavesPerEU: 34
; NumVGPRsForWavesPerEU: 51
; AccumOffset: 52
; Occupancy: 8
; WaveLimiterHint : 0
; COMPUTE_PGM_RSRC2:SCRATCH_EN: 0
; COMPUTE_PGM_RSRC2:USER_SGPR: 6
; COMPUTE_PGM_RSRC2:TRAP_HANDLER: 0
; COMPUTE_PGM_RSRC2:TGID_X_EN: 1
; COMPUTE_PGM_RSRC2:TGID_Y_EN: 0
; COMPUTE_PGM_RSRC2:TGID_Z_EN: 0
; COMPUTE_PGM_RSRC2:TIDIG_COMP_CNT: 0
; COMPUTE_PGM_RSRC3_GFX90A:ACCUM_OFFSET: 12
; COMPUTE_PGM_RSRC3_GFX90A:TG_SPLIT: 0
	.section	.text._ZN4vllm18act_and_mul_kernelIf15HIP_vector_typeIfLj2EETnPFT_RKS3_EXadL_ZNS_11silu_kernelIfEES3_S5_EETnPFT0_RKS9_EXadL_ZNS_18packed_silu_kernelIS2_EES3_S5_EELb1ELb1ELb1ELb1EEEvPS3_PS4_if,"axG",@progbits,_ZN4vllm18act_and_mul_kernelIf15HIP_vector_typeIfLj2EETnPFT_RKS3_EXadL_ZNS_11silu_kernelIfEES3_S5_EETnPFT0_RKS9_EXadL_ZNS_18packed_silu_kernelIS2_EES3_S5_EELb1ELb1ELb1ELb1EEEvPS3_PS4_if,comdat
	.protected	_ZN4vllm18act_and_mul_kernelIf15HIP_vector_typeIfLj2EETnPFT_RKS3_EXadL_ZNS_11silu_kernelIfEES3_S5_EETnPFT0_RKS9_EXadL_ZNS_18packed_silu_kernelIS2_EES3_S5_EELb1ELb1ELb1ELb1EEEvPS3_PS4_if ; -- Begin function _ZN4vllm18act_and_mul_kernelIf15HIP_vector_typeIfLj2EETnPFT_RKS3_EXadL_ZNS_11silu_kernelIfEES3_S5_EETnPFT0_RKS9_EXadL_ZNS_18packed_silu_kernelIS2_EES3_S5_EELb1ELb1ELb1ELb1EEEvPS3_PS4_if
	.globl	_ZN4vllm18act_and_mul_kernelIf15HIP_vector_typeIfLj2EETnPFT_RKS3_EXadL_ZNS_11silu_kernelIfEES3_S5_EETnPFT0_RKS9_EXadL_ZNS_18packed_silu_kernelIS2_EES3_S5_EELb1ELb1ELb1ELb1EEEvPS3_PS4_if
	.p2align	8
	.type	_ZN4vllm18act_and_mul_kernelIf15HIP_vector_typeIfLj2EETnPFT_RKS3_EXadL_ZNS_11silu_kernelIfEES3_S5_EETnPFT0_RKS9_EXadL_ZNS_18packed_silu_kernelIS2_EES3_S5_EELb1ELb1ELb1ELb1EEEvPS3_PS4_if,@function
_ZN4vllm18act_and_mul_kernelIf15HIP_vector_typeIfLj2EETnPFT_RKS3_EXadL_ZNS_11silu_kernelIfEES3_S5_EETnPFT0_RKS9_EXadL_ZNS_18packed_silu_kernelIS2_EES3_S5_EELb1ELb1ELb1ELb1EEEvPS3_PS4_if: ; @_ZN4vllm18act_and_mul_kernelIf15HIP_vector_typeIfLj2EETnPFT_RKS3_EXadL_ZNS_11silu_kernelIfEES3_S5_EETnPFT0_RKS9_EXadL_ZNS_18packed_silu_kernelIS2_EES3_S5_EELb1ELb1ELb1ELb1EEEvPS3_PS4_if
; %bb.0:
	s_add_u32 flat_scratch_lo, s6, s9
	s_load_dword s6, s[4:5], 0x10
	s_addc_u32 flat_scratch_hi, s7, 0
	s_add_u32 s0, s0, s9
	s_addc_u32 s1, s1, 0
	s_mov_b32 s32, 0
	s_waitcnt lgkmcnt(0)
	s_ashr_i32 s7, s6, 31
	s_lshr_b32 s7, s7, 29
	s_add_i32 s6, s6, s7
	s_ashr_i32 s6, s6, 3
	v_cmp_gt_i32_e32 vcc, s6, v0
	s_and_saveexec_b64 s[6:7], vcc
	s_cbranch_execz .LBB11_2
; %bb.1:
	s_add_u32 s8, s4, 24
	s_addc_u32 s9, s5, 0
	s_getpc_b64 s[4:5]
	s_add_u32 s4, s4, .str@rel32@lo+4
	s_addc_u32 s5, s5, .str@rel32@hi+12
	s_getpc_b64 s[6:7]
	s_add_u32 s6, s6, __PRETTY_FUNCTION__._ZN4vllm5ld256ERNS_7u32x8_tEPKS0_@rel32@lo+4
	s_addc_u32 s7, s7, __PRETTY_FUNCTION__._ZN4vllm5ld256ERNS_7u32x8_tEPKS0_@rel32@hi+12
	v_mov_b32_e32 v0, s4
	v_mov_b32_e32 v1, s5
	;; [unrolled: 1-line block ×5, first 2 shown]
	s_getpc_b64 s[10:11]
	s_add_u32 s10, s10, __assert_fail@rel32@lo+4
	s_addc_u32 s11, s11, __assert_fail@rel32@hi+12
	s_swappc_b64 s[30:31], s[10:11]
	; divergent unreachable
.LBB11_2:
	s_endpgm
	.section	.rodata,"a",@progbits
	.p2align	6, 0x0
	.amdhsa_kernel _ZN4vllm18act_and_mul_kernelIf15HIP_vector_typeIfLj2EETnPFT_RKS3_EXadL_ZNS_11silu_kernelIfEES3_S5_EETnPFT0_RKS9_EXadL_ZNS_18packed_silu_kernelIS2_EES3_S5_EELb1ELb1ELb1ELb1EEEvPS3_PS4_if
		.amdhsa_group_segment_fixed_size 0
		.amdhsa_private_segment_fixed_size 64
		.amdhsa_kernarg_size 280
		.amdhsa_user_sgpr_count 8
		.amdhsa_user_sgpr_private_segment_buffer 1
		.amdhsa_user_sgpr_dispatch_ptr 0
		.amdhsa_user_sgpr_queue_ptr 0
		.amdhsa_user_sgpr_kernarg_segment_ptr 1
		.amdhsa_user_sgpr_dispatch_id 0
		.amdhsa_user_sgpr_flat_scratch_init 1
		.amdhsa_user_sgpr_kernarg_preload_length 0
		.amdhsa_user_sgpr_kernarg_preload_offset 0
		.amdhsa_user_sgpr_private_segment_size 0
		.amdhsa_uses_dynamic_stack 0
		.amdhsa_system_sgpr_private_segment_wavefront_offset 1
		.amdhsa_system_sgpr_workgroup_id_x 1
		.amdhsa_system_sgpr_workgroup_id_y 0
		.amdhsa_system_sgpr_workgroup_id_z 0
		.amdhsa_system_sgpr_workgroup_info 0
		.amdhsa_system_vgpr_workitem_id 0
		.amdhsa_next_free_vgpr 51
		.amdhsa_next_free_sgpr 34
		.amdhsa_accum_offset 52
		.amdhsa_reserve_vcc 1
		.amdhsa_reserve_flat_scratch 1
		.amdhsa_float_round_mode_32 0
		.amdhsa_float_round_mode_16_64 0
		.amdhsa_float_denorm_mode_32 3
		.amdhsa_float_denorm_mode_16_64 3
		.amdhsa_dx10_clamp 1
		.amdhsa_ieee_mode 1
		.amdhsa_fp16_overflow 0
		.amdhsa_tg_split 0
		.amdhsa_exception_fp_ieee_invalid_op 0
		.amdhsa_exception_fp_denorm_src 0
		.amdhsa_exception_fp_ieee_div_zero 0
		.amdhsa_exception_fp_ieee_overflow 0
		.amdhsa_exception_fp_ieee_underflow 0
		.amdhsa_exception_fp_ieee_inexact 0
		.amdhsa_exception_int_div_zero 0
	.end_amdhsa_kernel
	.section	.text._ZN4vllm18act_and_mul_kernelIf15HIP_vector_typeIfLj2EETnPFT_RKS3_EXadL_ZNS_11silu_kernelIfEES3_S5_EETnPFT0_RKS9_EXadL_ZNS_18packed_silu_kernelIS2_EES3_S5_EELb1ELb1ELb1ELb1EEEvPS3_PS4_if,"axG",@progbits,_ZN4vllm18act_and_mul_kernelIf15HIP_vector_typeIfLj2EETnPFT_RKS3_EXadL_ZNS_11silu_kernelIfEES3_S5_EETnPFT0_RKS9_EXadL_ZNS_18packed_silu_kernelIS2_EES3_S5_EELb1ELb1ELb1ELb1EEEvPS3_PS4_if,comdat
.Lfunc_end11:
	.size	_ZN4vllm18act_and_mul_kernelIf15HIP_vector_typeIfLj2EETnPFT_RKS3_EXadL_ZNS_11silu_kernelIfEES3_S5_EETnPFT0_RKS9_EXadL_ZNS_18packed_silu_kernelIS2_EES3_S5_EELb1ELb1ELb1ELb1EEEvPS3_PS4_if, .Lfunc_end11-_ZN4vllm18act_and_mul_kernelIf15HIP_vector_typeIfLj2EETnPFT_RKS3_EXadL_ZNS_11silu_kernelIfEES3_S5_EETnPFT0_RKS9_EXadL_ZNS_18packed_silu_kernelIS2_EES3_S5_EELb1ELb1ELb1ELb1EEEvPS3_PS4_if
                                        ; -- End function
	.section	.AMDGPU.csdata,"",@progbits
; Kernel info:
; codeLenInByte = 160
; NumSgprs: 40
; NumVgprs: 51
; NumAgprs: 0
; TotalNumVgprs: 51
; ScratchSize: 64
; MemoryBound: 0
; FloatMode: 240
; IeeeMode: 1
; LDSByteSize: 0 bytes/workgroup (compile time only)
; SGPRBlocks: 4
; VGPRBlocks: 6
; NumSGPRsForWavesPerEU: 40
; NumVGPRsForWavesPerEU: 51
; AccumOffset: 52
; Occupancy: 8
; WaveLimiterHint : 1
; COMPUTE_PGM_RSRC2:SCRATCH_EN: 1
; COMPUTE_PGM_RSRC2:USER_SGPR: 8
; COMPUTE_PGM_RSRC2:TRAP_HANDLER: 0
; COMPUTE_PGM_RSRC2:TGID_X_EN: 1
; COMPUTE_PGM_RSRC2:TGID_Y_EN: 0
; COMPUTE_PGM_RSRC2:TGID_Z_EN: 0
; COMPUTE_PGM_RSRC2:TIDIG_COMP_CNT: 0
; COMPUTE_PGM_RSRC3_GFX90A:ACCUM_OFFSET: 12
; COMPUTE_PGM_RSRC3_GFX90A:TG_SPLIT: 0
	.section	.text._ZN4vllm18act_and_mul_kernelIN3c104HalfE7__half2TnPFT_RKS4_EXadL_ZNS_11silu_kernelIS2_EES4_S6_EETnPFT0_RKSA_EXadL_ZNS_18packed_silu_kernelIS3_EES4_S6_EELb1ELb1ELb1ELb1EEEvPS4_PS5_if,"axG",@progbits,_ZN4vllm18act_and_mul_kernelIN3c104HalfE7__half2TnPFT_RKS4_EXadL_ZNS_11silu_kernelIS2_EES4_S6_EETnPFT0_RKSA_EXadL_ZNS_18packed_silu_kernelIS3_EES4_S6_EELb1ELb1ELb1ELb1EEEvPS4_PS5_if,comdat
	.protected	_ZN4vllm18act_and_mul_kernelIN3c104HalfE7__half2TnPFT_RKS4_EXadL_ZNS_11silu_kernelIS2_EES4_S6_EETnPFT0_RKSA_EXadL_ZNS_18packed_silu_kernelIS3_EES4_S6_EELb1ELb1ELb1ELb1EEEvPS4_PS5_if ; -- Begin function _ZN4vllm18act_and_mul_kernelIN3c104HalfE7__half2TnPFT_RKS4_EXadL_ZNS_11silu_kernelIS2_EES4_S6_EETnPFT0_RKSA_EXadL_ZNS_18packed_silu_kernelIS3_EES4_S6_EELb1ELb1ELb1ELb1EEEvPS4_PS5_if
	.globl	_ZN4vllm18act_and_mul_kernelIN3c104HalfE7__half2TnPFT_RKS4_EXadL_ZNS_11silu_kernelIS2_EES4_S6_EETnPFT0_RKSA_EXadL_ZNS_18packed_silu_kernelIS3_EES4_S6_EELb1ELb1ELb1ELb1EEEvPS4_PS5_if
	.p2align	8
	.type	_ZN4vllm18act_and_mul_kernelIN3c104HalfE7__half2TnPFT_RKS4_EXadL_ZNS_11silu_kernelIS2_EES4_S6_EETnPFT0_RKSA_EXadL_ZNS_18packed_silu_kernelIS3_EES4_S6_EELb1ELb1ELb1ELb1EEEvPS4_PS5_if,@function
_ZN4vllm18act_and_mul_kernelIN3c104HalfE7__half2TnPFT_RKS4_EXadL_ZNS_11silu_kernelIS2_EES4_S6_EETnPFT0_RKSA_EXadL_ZNS_18packed_silu_kernelIS3_EES4_S6_EELb1ELb1ELb1ELb1EEEvPS4_PS5_if: ; @_ZN4vllm18act_and_mul_kernelIN3c104HalfE7__half2TnPFT_RKS4_EXadL_ZNS_11silu_kernelIS2_EES4_S6_EETnPFT0_RKSA_EXadL_ZNS_18packed_silu_kernelIS3_EES4_S6_EELb1ELb1ELb1ELb1EEEvPS4_PS5_if
; %bb.0:
	s_add_u32 flat_scratch_lo, s6, s9
	s_load_dword s6, s[4:5], 0x10
	s_addc_u32 flat_scratch_hi, s7, 0
	s_add_u32 s0, s0, s9
	s_addc_u32 s1, s1, 0
	s_mov_b32 s32, 0
	s_waitcnt lgkmcnt(0)
	s_ashr_i32 s7, s6, 31
	s_lshr_b32 s7, s7, 28
	s_add_i32 s6, s6, s7
	s_ashr_i32 s6, s6, 4
	v_cmp_gt_i32_e32 vcc, s6, v0
	s_and_saveexec_b64 s[6:7], vcc
	s_cbranch_execz .LBB12_2
; %bb.1:
	s_add_u32 s8, s4, 24
	s_addc_u32 s9, s5, 0
	s_getpc_b64 s[4:5]
	s_add_u32 s4, s4, .str@rel32@lo+4
	s_addc_u32 s5, s5, .str@rel32@hi+12
	s_getpc_b64 s[6:7]
	s_add_u32 s6, s6, __PRETTY_FUNCTION__._ZN4vllm5ld256ERNS_7u32x8_tEPKS0_@rel32@lo+4
	s_addc_u32 s7, s7, __PRETTY_FUNCTION__._ZN4vllm5ld256ERNS_7u32x8_tEPKS0_@rel32@hi+12
	v_mov_b32_e32 v0, s4
	v_mov_b32_e32 v1, s5
	;; [unrolled: 1-line block ×5, first 2 shown]
	s_getpc_b64 s[10:11]
	s_add_u32 s10, s10, __assert_fail@rel32@lo+4
	s_addc_u32 s11, s11, __assert_fail@rel32@hi+12
	s_swappc_b64 s[30:31], s[10:11]
	; divergent unreachable
.LBB12_2:
	s_endpgm
	.section	.rodata,"a",@progbits
	.p2align	6, 0x0
	.amdhsa_kernel _ZN4vllm18act_and_mul_kernelIN3c104HalfE7__half2TnPFT_RKS4_EXadL_ZNS_11silu_kernelIS2_EES4_S6_EETnPFT0_RKSA_EXadL_ZNS_18packed_silu_kernelIS3_EES4_S6_EELb1ELb1ELb1ELb1EEEvPS4_PS5_if
		.amdhsa_group_segment_fixed_size 0
		.amdhsa_private_segment_fixed_size 64
		.amdhsa_kernarg_size 280
		.amdhsa_user_sgpr_count 8
		.amdhsa_user_sgpr_private_segment_buffer 1
		.amdhsa_user_sgpr_dispatch_ptr 0
		.amdhsa_user_sgpr_queue_ptr 0
		.amdhsa_user_sgpr_kernarg_segment_ptr 1
		.amdhsa_user_sgpr_dispatch_id 0
		.amdhsa_user_sgpr_flat_scratch_init 1
		.amdhsa_user_sgpr_kernarg_preload_length 0
		.amdhsa_user_sgpr_kernarg_preload_offset 0
		.amdhsa_user_sgpr_private_segment_size 0
		.amdhsa_uses_dynamic_stack 0
		.amdhsa_system_sgpr_private_segment_wavefront_offset 1
		.amdhsa_system_sgpr_workgroup_id_x 1
		.amdhsa_system_sgpr_workgroup_id_y 0
		.amdhsa_system_sgpr_workgroup_id_z 0
		.amdhsa_system_sgpr_workgroup_info 0
		.amdhsa_system_vgpr_workitem_id 0
		.amdhsa_next_free_vgpr 51
		.amdhsa_next_free_sgpr 34
		.amdhsa_accum_offset 52
		.amdhsa_reserve_vcc 1
		.amdhsa_reserve_flat_scratch 1
		.amdhsa_float_round_mode_32 0
		.amdhsa_float_round_mode_16_64 0
		.amdhsa_float_denorm_mode_32 3
		.amdhsa_float_denorm_mode_16_64 3
		.amdhsa_dx10_clamp 1
		.amdhsa_ieee_mode 1
		.amdhsa_fp16_overflow 0
		.amdhsa_tg_split 0
		.amdhsa_exception_fp_ieee_invalid_op 0
		.amdhsa_exception_fp_denorm_src 0
		.amdhsa_exception_fp_ieee_div_zero 0
		.amdhsa_exception_fp_ieee_overflow 0
		.amdhsa_exception_fp_ieee_underflow 0
		.amdhsa_exception_fp_ieee_inexact 0
		.amdhsa_exception_int_div_zero 0
	.end_amdhsa_kernel
	.section	.text._ZN4vllm18act_and_mul_kernelIN3c104HalfE7__half2TnPFT_RKS4_EXadL_ZNS_11silu_kernelIS2_EES4_S6_EETnPFT0_RKSA_EXadL_ZNS_18packed_silu_kernelIS3_EES4_S6_EELb1ELb1ELb1ELb1EEEvPS4_PS5_if,"axG",@progbits,_ZN4vllm18act_and_mul_kernelIN3c104HalfE7__half2TnPFT_RKS4_EXadL_ZNS_11silu_kernelIS2_EES4_S6_EETnPFT0_RKSA_EXadL_ZNS_18packed_silu_kernelIS3_EES4_S6_EELb1ELb1ELb1ELb1EEEvPS4_PS5_if,comdat
.Lfunc_end12:
	.size	_ZN4vllm18act_and_mul_kernelIN3c104HalfE7__half2TnPFT_RKS4_EXadL_ZNS_11silu_kernelIS2_EES4_S6_EETnPFT0_RKSA_EXadL_ZNS_18packed_silu_kernelIS3_EES4_S6_EELb1ELb1ELb1ELb1EEEvPS4_PS5_if, .Lfunc_end12-_ZN4vllm18act_and_mul_kernelIN3c104HalfE7__half2TnPFT_RKS4_EXadL_ZNS_11silu_kernelIS2_EES4_S6_EETnPFT0_RKSA_EXadL_ZNS_18packed_silu_kernelIS3_EES4_S6_EELb1ELb1ELb1ELb1EEEvPS4_PS5_if
                                        ; -- End function
	.section	.AMDGPU.csdata,"",@progbits
; Kernel info:
; codeLenInByte = 160
; NumSgprs: 40
; NumVgprs: 51
; NumAgprs: 0
; TotalNumVgprs: 51
; ScratchSize: 64
; MemoryBound: 0
; FloatMode: 240
; IeeeMode: 1
; LDSByteSize: 0 bytes/workgroup (compile time only)
; SGPRBlocks: 4
; VGPRBlocks: 6
; NumSGPRsForWavesPerEU: 40
; NumVGPRsForWavesPerEU: 51
; AccumOffset: 52
; Occupancy: 8
; WaveLimiterHint : 1
; COMPUTE_PGM_RSRC2:SCRATCH_EN: 1
; COMPUTE_PGM_RSRC2:USER_SGPR: 8
; COMPUTE_PGM_RSRC2:TRAP_HANDLER: 0
; COMPUTE_PGM_RSRC2:TGID_X_EN: 1
; COMPUTE_PGM_RSRC2:TGID_Y_EN: 0
; COMPUTE_PGM_RSRC2:TGID_Z_EN: 0
; COMPUTE_PGM_RSRC2:TIDIG_COMP_CNT: 0
; COMPUTE_PGM_RSRC3_GFX90A:ACCUM_OFFSET: 12
; COMPUTE_PGM_RSRC3_GFX90A:TG_SPLIT: 0
	.section	.text._ZN4vllm18act_and_mul_kernelIN3c108BFloat16E15__hip_bfloat162TnPFT_RKS4_EXadL_ZNS_11silu_kernelIS2_EES4_S6_EETnPFT0_RKSA_EXadL_ZNS_18packed_silu_kernelIS3_EES4_S6_EELb1ELb1ELb1ELb1EEEvPS4_PS5_if,"axG",@progbits,_ZN4vllm18act_and_mul_kernelIN3c108BFloat16E15__hip_bfloat162TnPFT_RKS4_EXadL_ZNS_11silu_kernelIS2_EES4_S6_EETnPFT0_RKSA_EXadL_ZNS_18packed_silu_kernelIS3_EES4_S6_EELb1ELb1ELb1ELb1EEEvPS4_PS5_if,comdat
	.protected	_ZN4vllm18act_and_mul_kernelIN3c108BFloat16E15__hip_bfloat162TnPFT_RKS4_EXadL_ZNS_11silu_kernelIS2_EES4_S6_EETnPFT0_RKSA_EXadL_ZNS_18packed_silu_kernelIS3_EES4_S6_EELb1ELb1ELb1ELb1EEEvPS4_PS5_if ; -- Begin function _ZN4vllm18act_and_mul_kernelIN3c108BFloat16E15__hip_bfloat162TnPFT_RKS4_EXadL_ZNS_11silu_kernelIS2_EES4_S6_EETnPFT0_RKSA_EXadL_ZNS_18packed_silu_kernelIS3_EES4_S6_EELb1ELb1ELb1ELb1EEEvPS4_PS5_if
	.globl	_ZN4vllm18act_and_mul_kernelIN3c108BFloat16E15__hip_bfloat162TnPFT_RKS4_EXadL_ZNS_11silu_kernelIS2_EES4_S6_EETnPFT0_RKSA_EXadL_ZNS_18packed_silu_kernelIS3_EES4_S6_EELb1ELb1ELb1ELb1EEEvPS4_PS5_if
	.p2align	8
	.type	_ZN4vllm18act_and_mul_kernelIN3c108BFloat16E15__hip_bfloat162TnPFT_RKS4_EXadL_ZNS_11silu_kernelIS2_EES4_S6_EETnPFT0_RKSA_EXadL_ZNS_18packed_silu_kernelIS3_EES4_S6_EELb1ELb1ELb1ELb1EEEvPS4_PS5_if,@function
_ZN4vllm18act_and_mul_kernelIN3c108BFloat16E15__hip_bfloat162TnPFT_RKS4_EXadL_ZNS_11silu_kernelIS2_EES4_S6_EETnPFT0_RKSA_EXadL_ZNS_18packed_silu_kernelIS3_EES4_S6_EELb1ELb1ELb1ELb1EEEvPS4_PS5_if: ; @_ZN4vllm18act_and_mul_kernelIN3c108BFloat16E15__hip_bfloat162TnPFT_RKS4_EXadL_ZNS_11silu_kernelIS2_EES4_S6_EETnPFT0_RKSA_EXadL_ZNS_18packed_silu_kernelIS3_EES4_S6_EELb1ELb1ELb1ELb1EEEvPS4_PS5_if
; %bb.0:
	s_add_u32 flat_scratch_lo, s6, s9
	s_load_dword s6, s[4:5], 0x10
	s_addc_u32 flat_scratch_hi, s7, 0
	s_add_u32 s0, s0, s9
	s_addc_u32 s1, s1, 0
	s_mov_b32 s32, 0
	s_waitcnt lgkmcnt(0)
	s_ashr_i32 s7, s6, 31
	s_lshr_b32 s7, s7, 28
	s_add_i32 s6, s6, s7
	s_ashr_i32 s6, s6, 4
	v_cmp_gt_i32_e32 vcc, s6, v0
	s_and_saveexec_b64 s[6:7], vcc
	s_cbranch_execz .LBB13_2
; %bb.1:
	s_add_u32 s8, s4, 24
	s_addc_u32 s9, s5, 0
	s_getpc_b64 s[4:5]
	s_add_u32 s4, s4, .str@rel32@lo+4
	s_addc_u32 s5, s5, .str@rel32@hi+12
	s_getpc_b64 s[6:7]
	s_add_u32 s6, s6, __PRETTY_FUNCTION__._ZN4vllm5ld256ERNS_7u32x8_tEPKS0_@rel32@lo+4
	s_addc_u32 s7, s7, __PRETTY_FUNCTION__._ZN4vllm5ld256ERNS_7u32x8_tEPKS0_@rel32@hi+12
	v_mov_b32_e32 v0, s4
	v_mov_b32_e32 v1, s5
	;; [unrolled: 1-line block ×5, first 2 shown]
	s_getpc_b64 s[10:11]
	s_add_u32 s10, s10, __assert_fail@rel32@lo+4
	s_addc_u32 s11, s11, __assert_fail@rel32@hi+12
	s_swappc_b64 s[30:31], s[10:11]
	; divergent unreachable
.LBB13_2:
	s_endpgm
	.section	.rodata,"a",@progbits
	.p2align	6, 0x0
	.amdhsa_kernel _ZN4vllm18act_and_mul_kernelIN3c108BFloat16E15__hip_bfloat162TnPFT_RKS4_EXadL_ZNS_11silu_kernelIS2_EES4_S6_EETnPFT0_RKSA_EXadL_ZNS_18packed_silu_kernelIS3_EES4_S6_EELb1ELb1ELb1ELb1EEEvPS4_PS5_if
		.amdhsa_group_segment_fixed_size 0
		.amdhsa_private_segment_fixed_size 64
		.amdhsa_kernarg_size 280
		.amdhsa_user_sgpr_count 8
		.amdhsa_user_sgpr_private_segment_buffer 1
		.amdhsa_user_sgpr_dispatch_ptr 0
		.amdhsa_user_sgpr_queue_ptr 0
		.amdhsa_user_sgpr_kernarg_segment_ptr 1
		.amdhsa_user_sgpr_dispatch_id 0
		.amdhsa_user_sgpr_flat_scratch_init 1
		.amdhsa_user_sgpr_kernarg_preload_length 0
		.amdhsa_user_sgpr_kernarg_preload_offset 0
		.amdhsa_user_sgpr_private_segment_size 0
		.amdhsa_uses_dynamic_stack 0
		.amdhsa_system_sgpr_private_segment_wavefront_offset 1
		.amdhsa_system_sgpr_workgroup_id_x 1
		.amdhsa_system_sgpr_workgroup_id_y 0
		.amdhsa_system_sgpr_workgroup_id_z 0
		.amdhsa_system_sgpr_workgroup_info 0
		.amdhsa_system_vgpr_workitem_id 0
		.amdhsa_next_free_vgpr 51
		.amdhsa_next_free_sgpr 34
		.amdhsa_accum_offset 52
		.amdhsa_reserve_vcc 1
		.amdhsa_reserve_flat_scratch 1
		.amdhsa_float_round_mode_32 0
		.amdhsa_float_round_mode_16_64 0
		.amdhsa_float_denorm_mode_32 3
		.amdhsa_float_denorm_mode_16_64 3
		.amdhsa_dx10_clamp 1
		.amdhsa_ieee_mode 1
		.amdhsa_fp16_overflow 0
		.amdhsa_tg_split 0
		.amdhsa_exception_fp_ieee_invalid_op 0
		.amdhsa_exception_fp_denorm_src 0
		.amdhsa_exception_fp_ieee_div_zero 0
		.amdhsa_exception_fp_ieee_overflow 0
		.amdhsa_exception_fp_ieee_underflow 0
		.amdhsa_exception_fp_ieee_inexact 0
		.amdhsa_exception_int_div_zero 0
	.end_amdhsa_kernel
	.section	.text._ZN4vllm18act_and_mul_kernelIN3c108BFloat16E15__hip_bfloat162TnPFT_RKS4_EXadL_ZNS_11silu_kernelIS2_EES4_S6_EETnPFT0_RKSA_EXadL_ZNS_18packed_silu_kernelIS3_EES4_S6_EELb1ELb1ELb1ELb1EEEvPS4_PS5_if,"axG",@progbits,_ZN4vllm18act_and_mul_kernelIN3c108BFloat16E15__hip_bfloat162TnPFT_RKS4_EXadL_ZNS_11silu_kernelIS2_EES4_S6_EETnPFT0_RKSA_EXadL_ZNS_18packed_silu_kernelIS3_EES4_S6_EELb1ELb1ELb1ELb1EEEvPS4_PS5_if,comdat
.Lfunc_end13:
	.size	_ZN4vllm18act_and_mul_kernelIN3c108BFloat16E15__hip_bfloat162TnPFT_RKS4_EXadL_ZNS_11silu_kernelIS2_EES4_S6_EETnPFT0_RKSA_EXadL_ZNS_18packed_silu_kernelIS3_EES4_S6_EELb1ELb1ELb1ELb1EEEvPS4_PS5_if, .Lfunc_end13-_ZN4vllm18act_and_mul_kernelIN3c108BFloat16E15__hip_bfloat162TnPFT_RKS4_EXadL_ZNS_11silu_kernelIS2_EES4_S6_EETnPFT0_RKSA_EXadL_ZNS_18packed_silu_kernelIS3_EES4_S6_EELb1ELb1ELb1ELb1EEEvPS4_PS5_if
                                        ; -- End function
	.section	.AMDGPU.csdata,"",@progbits
; Kernel info:
; codeLenInByte = 160
; NumSgprs: 40
; NumVgprs: 51
; NumAgprs: 0
; TotalNumVgprs: 51
; ScratchSize: 64
; MemoryBound: 0
; FloatMode: 240
; IeeeMode: 1
; LDSByteSize: 0 bytes/workgroup (compile time only)
; SGPRBlocks: 4
; VGPRBlocks: 6
; NumSGPRsForWavesPerEU: 40
; NumVGPRsForWavesPerEU: 51
; AccumOffset: 52
; Occupancy: 8
; WaveLimiterHint : 1
; COMPUTE_PGM_RSRC2:SCRATCH_EN: 1
; COMPUTE_PGM_RSRC2:USER_SGPR: 8
; COMPUTE_PGM_RSRC2:TRAP_HANDLER: 0
; COMPUTE_PGM_RSRC2:TGID_X_EN: 1
; COMPUTE_PGM_RSRC2:TGID_Y_EN: 0
; COMPUTE_PGM_RSRC2:TGID_Z_EN: 0
; COMPUTE_PGM_RSRC2:TIDIG_COMP_CNT: 0
; COMPUTE_PGM_RSRC3_GFX90A:ACCUM_OFFSET: 12
; COMPUTE_PGM_RSRC3_GFX90A:TG_SPLIT: 0
	.section	.text._ZN4vllm18act_and_mul_kernelIf15HIP_vector_typeIfLj2EETnPFT_RKS3_EXadL_ZNS_11silu_kernelIfEES3_S5_EETnPFT0_RKS9_EXadL_ZNS_18packed_silu_kernelIS2_EES3_S5_EELb1ELb1ELb1ELb0EEEvPS3_PS4_if,"axG",@progbits,_ZN4vllm18act_and_mul_kernelIf15HIP_vector_typeIfLj2EETnPFT_RKS3_EXadL_ZNS_11silu_kernelIfEES3_S5_EETnPFT0_RKS9_EXadL_ZNS_18packed_silu_kernelIS2_EES3_S5_EELb1ELb1ELb1ELb0EEEvPS3_PS4_if,comdat
	.protected	_ZN4vllm18act_and_mul_kernelIf15HIP_vector_typeIfLj2EETnPFT_RKS3_EXadL_ZNS_11silu_kernelIfEES3_S5_EETnPFT0_RKS9_EXadL_ZNS_18packed_silu_kernelIS2_EES3_S5_EELb1ELb1ELb1ELb0EEEvPS3_PS4_if ; -- Begin function _ZN4vllm18act_and_mul_kernelIf15HIP_vector_typeIfLj2EETnPFT_RKS3_EXadL_ZNS_11silu_kernelIfEES3_S5_EETnPFT0_RKS9_EXadL_ZNS_18packed_silu_kernelIS2_EES3_S5_EELb1ELb1ELb1ELb0EEEvPS3_PS4_if
	.globl	_ZN4vllm18act_and_mul_kernelIf15HIP_vector_typeIfLj2EETnPFT_RKS3_EXadL_ZNS_11silu_kernelIfEES3_S5_EETnPFT0_RKS9_EXadL_ZNS_18packed_silu_kernelIS2_EES3_S5_EELb1ELb1ELb1ELb0EEEvPS3_PS4_if
	.p2align	8
	.type	_ZN4vllm18act_and_mul_kernelIf15HIP_vector_typeIfLj2EETnPFT_RKS3_EXadL_ZNS_11silu_kernelIfEES3_S5_EETnPFT0_RKS9_EXadL_ZNS_18packed_silu_kernelIS2_EES3_S5_EELb1ELb1ELb1ELb0EEEvPS3_PS4_if,@function
_ZN4vllm18act_and_mul_kernelIf15HIP_vector_typeIfLj2EETnPFT_RKS3_EXadL_ZNS_11silu_kernelIfEES3_S5_EETnPFT0_RKS9_EXadL_ZNS_18packed_silu_kernelIS2_EES3_S5_EELb1ELb1ELb1ELb0EEEvPS3_PS4_if: ; @_ZN4vllm18act_and_mul_kernelIf15HIP_vector_typeIfLj2EETnPFT_RKS3_EXadL_ZNS_11silu_kernelIfEES3_S5_EETnPFT0_RKS9_EXadL_ZNS_18packed_silu_kernelIS2_EES3_S5_EELb1ELb1ELb1ELb0EEEvPS3_PS4_if
; %bb.0:
	s_load_dwordx2 s[0:1], s[4:5], 0x10
	s_waitcnt lgkmcnt(0)
	s_ashr_i32 s3, s0, 31
	s_lshr_b32 s2, s3, 30
	s_add_i32 s2, s0, s2
	s_ashr_i32 s10, s2, 2
	v_cmp_gt_i32_e32 vcc, s10, v0
	s_and_saveexec_b64 s[8:9], vcc
	s_cbranch_execz .LBB14_3
; %bb.1:
	s_load_dwordx4 s[16:19], s[4:5], 0x0
	s_load_dword s11, s[4:5], 0x24
	s_mul_i32 s6, s6, s0
	s_lshl_b32 s8, s6, 1
	s_mov_b32 s9, 0
	s_mov_b32 s2, s0
	s_xor_b32 s0, s1, 0x80000000
	s_waitcnt lgkmcnt(0)
	s_and_b32 s11, s11, 0xffff
	s_lshl_b64 s[4:5], s[8:9], 2
	s_add_u32 s4, s18, s4
	v_lshlrev_b32_e32 v2, 4, v0
	s_addc_u32 s5, s19, s5
	v_mov_b32_e32 v3, s5
	v_add_co_u32_e32 v1, vcc, s4, v2
	s_mov_b32 s7, s9
	v_addc_co_u32_e32 v6, vcc, 0, v3, vcc
	s_lshl_b64 s[2:3], s[2:3], 2
	s_lshl_b32 s12, s11, 4
	v_mov_b32_e32 v3, s3
	v_add_co_u32_e32 v7, vcc, s2, v1
	s_lshl_b64 s[2:3], s[6:7], 2
	s_add_u32 s2, s16, s2
	v_addc_co_u32_e32 v8, vcc, v6, v3, vcc
	s_addc_u32 s3, s17, s3
	s_mov_b32 s13, s1
	s_mov_b32 s14, s1
	;; [unrolled: 1-line block ×8, first 2 shown]
	v_mov_b32_e32 v3, s3
	v_add_co_u32_e32 v9, vcc, s2, v2
	v_addc_co_u32_e32 v10, vcc, 0, v3, vcc
	s_mov_b64 s[6:7], 0
	v_max_f32_e64 v11, s13, s13
	v_max_f32_e64 v12, s1, s1
	;; [unrolled: 1-line block ×10, first 2 shown]
	s_mov_b32 s13, 0xbfb8aa3b
	s_mov_b32 s14, 0x42ce8ed0
	;; [unrolled: 1-line block ×3, first 2 shown]
	v_mov_b32_e32 v21, 0x7f800000
	s_mov_b64 s[8:9], 0
.LBB14_2:                               ; =>This Inner Loop Header: Depth=1
	v_mov_b32_e32 v5, s9
	v_add_co_u32_e64 v30, s[2:3], s8, v1
	v_add_co_u32_e32 v2, vcc, s8, v7
	v_addc_co_u32_e64 v31, s[2:3], v6, v5, s[2:3]
	v_addc_co_u32_e32 v3, vcc, v8, v5, vcc
	global_load_dwordx4 v[22:25], v[30:31], off
	global_load_dwordx4 v[26:29], v[2:3], off
	v_add_co_u32_e64 v4, s[0:1], s8, v9
	v_add_u32_e32 v0, s11, v0
	s_add_u32 s8, s8, s12
	v_addc_co_u32_e64 v5, vcc, v10, v5, s[0:1]
	s_addc_u32 s9, s9, 0
	v_cmp_le_i32_e32 vcc, s10, v0
	s_or_b64 s[6:7], vcc, s[6:7]
	s_waitcnt vmcnt(1)
	v_max_f32_e32 v2, v22, v22
	v_max_f32_e32 v3, v23, v23
	;; [unrolled: 1-line block ×4, first 2 shown]
	s_waitcnt vmcnt(0)
	v_max_f32_e32 v24, v28, v28
	v_max_f32_e32 v25, v29, v29
	v_min_f32_e32 v28, v2, v11
	v_min_f32_e32 v29, v3, v12
	;; [unrolled: 1-line block ×6, first 2 shown]
	v_max_f32_e32 v25, v23, v19
	v_max_f32_e32 v24, v22, v20
	v_mul_f32_e32 v22, 0xbfb8aa3b, v29
	v_mul_f32_e32 v23, 0xbfb8aa3b, v28
	v_max_f32_e32 v26, v26, v26
	v_max_f32_e32 v27, v27, v27
	v_fma_f32 v32, v29, s13, -v22
	v_rndne_f32_e32 v33, v22
	v_fma_f32 v34, v28, s13, -v23
	v_rndne_f32_e32 v35, v23
	v_min_f32_e32 v2, v26, v15
	v_min_f32_e32 v3, v27, v16
	v_mul_f32_e32 v26, 0xbfb8aa3b, v31
	v_mul_f32_e32 v27, 0xbfb8aa3b, v30
	v_fmac_f32_e32 v32, 0xb2a5705f, v29
	v_sub_f32_e32 v22, v22, v33
	v_fmac_f32_e32 v34, 0xb2a5705f, v28
	v_sub_f32_e32 v23, v23, v35
	v_fma_f32 v36, v31, s13, -v26
	v_rndne_f32_e32 v37, v26
	v_fma_f32 v38, v30, s13, -v27
	v_rndne_f32_e32 v39, v27
	v_add_f32_e32 v22, v22, v32
	v_add_f32_e32 v23, v23, v34
	v_cvt_i32_f32_e32 v33, v33
	v_cvt_i32_f32_e32 v35, v35
	v_fmac_f32_e32 v36, 0xb2a5705f, v31
	v_sub_f32_e32 v26, v26, v37
	v_fmac_f32_e32 v38, 0xb2a5705f, v30
	v_sub_f32_e32 v27, v27, v39
	v_exp_f32_e32 v22, v22
	v_exp_f32_e32 v23, v23
	v_add_f32_e32 v26, v26, v36
	v_add_f32_e32 v27, v27, v38
	v_cvt_i32_f32_e32 v37, v37
	v_cvt_i32_f32_e32 v39, v39
	v_exp_f32_e32 v26, v26
	v_exp_f32_e32 v27, v27
	v_ldexp_f32 v22, v22, v33
	v_ldexp_f32 v23, v23, v35
	v_cmp_nlt_f32_e32 vcc, s14, v28
	v_cmp_nlt_f32_e64 s[4:5], s14, v29
	v_cndmask_b32_e64 v22, 0, v22, s[4:5]
	v_cndmask_b32_e32 v32, 0, v23, vcc
	v_cmp_ngt_f32_e32 vcc, s15, v28
	v_cmp_ngt_f32_e64 s[4:5], s15, v29
	v_ldexp_f32 v26, v26, v37
	v_cmp_nlt_f32_e64 s[0:1], s14, v31
	v_ldexp_f32 v27, v27, v39
	v_cmp_nlt_f32_e64 s[2:3], s14, v30
	v_cndmask_b32_e64 v23, v21, v22, s[4:5]
	v_cndmask_b32_e32 v22, v21, v32, vcc
	v_cndmask_b32_e64 v26, 0, v26, s[0:1]
	v_cmp_ngt_f32_e64 s[0:1], s15, v31
	v_cndmask_b32_e64 v33, 0, v27, s[2:3]
	v_cmp_ngt_f32_e64 s[2:3], s15, v30
	v_pk_add_f32 v[22:23], v[22:23], 1.0 op_sel_hi:[1,0]
	v_cndmask_b32_e64 v27, v21, v26, s[0:1]
	v_cndmask_b32_e64 v26, v21, v33, s[2:3]
	v_div_scale_f32 v32, s[0:1], v23, v23, v29
	v_pk_add_f32 v[26:27], v[26:27], 1.0 op_sel_hi:[1,0]
	v_div_scale_f32 v34, s[0:1], v22, v22, v28
	v_rcp_f32_e32 v40, v32
	v_div_scale_f32 v36, s[2:3], v27, v27, v31
	v_rcp_f32_e32 v41, v34
	;; [unrolled: 2-line block ×3, first 2 shown]
	v_rcp_f32_e32 v43, v38
	v_fma_f32 v44, -v32, v40, 1.0
	v_div_scale_f32 v33, vcc, v29, v23, v29
	v_fma_f32 v45, -v34, v41, 1.0
	v_fmac_f32_e32 v40, v44, v40
	v_div_scale_f32 v35, s[0:1], v28, v22, v28
	v_fma_f32 v46, -v36, v42, 1.0
	v_fmac_f32_e32 v41, v45, v41
	v_mul_f32_e32 v44, v33, v40
	v_div_scale_f32 v37, s[2:3], v31, v27, v31
	v_fma_f32 v47, -v38, v43, 1.0
	v_fmac_f32_e32 v42, v46, v42
	v_mul_f32_e32 v45, v35, v41
	v_fma_f32 v48, -v32, v44, v33
	v_div_scale_f32 v39, s[4:5], v30, v26, v30
	v_fmac_f32_e32 v43, v47, v43
	v_mul_f32_e32 v46, v37, v42
	v_fma_f32 v49, -v34, v45, v35
	v_fmac_f32_e32 v44, v48, v40
	v_mul_f32_e32 v47, v39, v43
	v_fma_f32 v50, -v36, v46, v37
	v_fmac_f32_e32 v45, v49, v41
	v_fma_f32 v32, -v32, v44, v33
	v_fma_f32 v51, -v38, v47, v39
	v_fmac_f32_e32 v46, v50, v42
	v_fma_f32 v33, -v34, v45, v35
	v_div_fmas_f32 v32, v32, v40, v44
	s_mov_b64 vcc, s[0:1]
	v_fmac_f32_e32 v47, v51, v43
	v_fma_f32 v34, -v36, v46, v37
	v_div_fixup_f32 v23, v32, v23, v29
	v_div_fmas_f32 v29, v33, v41, v45
	s_mov_b64 vcc, s[2:3]
	v_fma_f32 v35, -v38, v47, v39
	v_div_fixup_f32 v22, v29, v22, v28
	v_div_fmas_f32 v28, v34, v42, v46
	s_mov_b64 vcc, s[4:5]
	v_div_fixup_f32 v27, v28, v27, v31
	v_div_fmas_f32 v28, v35, v43, v47
	v_max_f32_e32 v3, v3, v17
	v_max_f32_e32 v2, v2, v18
	v_div_fixup_f32 v26, v28, v26, v30
	v_pk_mul_f32 v[22:23], v[2:3], v[22:23]
	v_pk_mul_f32 v[24:25], v[24:25], v[26:27]
	global_store_dwordx4 v[4:5], v[22:25], off
	s_andn2_b64 exec, exec, s[6:7]
	s_cbranch_execnz .LBB14_2
.LBB14_3:
	s_endpgm
	.section	.rodata,"a",@progbits
	.p2align	6, 0x0
	.amdhsa_kernel _ZN4vllm18act_and_mul_kernelIf15HIP_vector_typeIfLj2EETnPFT_RKS3_EXadL_ZNS_11silu_kernelIfEES3_S5_EETnPFT0_RKS9_EXadL_ZNS_18packed_silu_kernelIS2_EES3_S5_EELb1ELb1ELb1ELb0EEEvPS3_PS4_if
		.amdhsa_group_segment_fixed_size 0
		.amdhsa_private_segment_fixed_size 0
		.amdhsa_kernarg_size 280
		.amdhsa_user_sgpr_count 6
		.amdhsa_user_sgpr_private_segment_buffer 1
		.amdhsa_user_sgpr_dispatch_ptr 0
		.amdhsa_user_sgpr_queue_ptr 0
		.amdhsa_user_sgpr_kernarg_segment_ptr 1
		.amdhsa_user_sgpr_dispatch_id 0
		.amdhsa_user_sgpr_flat_scratch_init 0
		.amdhsa_user_sgpr_kernarg_preload_length 0
		.amdhsa_user_sgpr_kernarg_preload_offset 0
		.amdhsa_user_sgpr_private_segment_size 0
		.amdhsa_uses_dynamic_stack 0
		.amdhsa_system_sgpr_private_segment_wavefront_offset 0
		.amdhsa_system_sgpr_workgroup_id_x 1
		.amdhsa_system_sgpr_workgroup_id_y 0
		.amdhsa_system_sgpr_workgroup_id_z 0
		.amdhsa_system_sgpr_workgroup_info 0
		.amdhsa_system_vgpr_workitem_id 0
		.amdhsa_next_free_vgpr 52
		.amdhsa_next_free_sgpr 25
		.amdhsa_accum_offset 52
		.amdhsa_reserve_vcc 1
		.amdhsa_reserve_flat_scratch 0
		.amdhsa_float_round_mode_32 0
		.amdhsa_float_round_mode_16_64 0
		.amdhsa_float_denorm_mode_32 3
		.amdhsa_float_denorm_mode_16_64 3
		.amdhsa_dx10_clamp 1
		.amdhsa_ieee_mode 1
		.amdhsa_fp16_overflow 0
		.amdhsa_tg_split 0
		.amdhsa_exception_fp_ieee_invalid_op 0
		.amdhsa_exception_fp_denorm_src 0
		.amdhsa_exception_fp_ieee_div_zero 0
		.amdhsa_exception_fp_ieee_overflow 0
		.amdhsa_exception_fp_ieee_underflow 0
		.amdhsa_exception_fp_ieee_inexact 0
		.amdhsa_exception_int_div_zero 0
	.end_amdhsa_kernel
	.section	.text._ZN4vllm18act_and_mul_kernelIf15HIP_vector_typeIfLj2EETnPFT_RKS3_EXadL_ZNS_11silu_kernelIfEES3_S5_EETnPFT0_RKS9_EXadL_ZNS_18packed_silu_kernelIS2_EES3_S5_EELb1ELb1ELb1ELb0EEEvPS3_PS4_if,"axG",@progbits,_ZN4vllm18act_and_mul_kernelIf15HIP_vector_typeIfLj2EETnPFT_RKS3_EXadL_ZNS_11silu_kernelIfEES3_S5_EETnPFT0_RKS9_EXadL_ZNS_18packed_silu_kernelIS2_EES3_S5_EELb1ELb1ELb1ELb0EEEvPS3_PS4_if,comdat
.Lfunc_end14:
	.size	_ZN4vllm18act_and_mul_kernelIf15HIP_vector_typeIfLj2EETnPFT_RKS3_EXadL_ZNS_11silu_kernelIfEES3_S5_EETnPFT0_RKS9_EXadL_ZNS_18packed_silu_kernelIS2_EES3_S5_EELb1ELb1ELb1ELb0EEEvPS3_PS4_if, .Lfunc_end14-_ZN4vllm18act_and_mul_kernelIf15HIP_vector_typeIfLj2EETnPFT_RKS3_EXadL_ZNS_11silu_kernelIfEES3_S5_EETnPFT0_RKS9_EXadL_ZNS_18packed_silu_kernelIS2_EES3_S5_EELb1ELb1ELb1ELb0EEEvPS3_PS4_if
                                        ; -- End function
	.section	.AMDGPU.csdata,"",@progbits
; Kernel info:
; codeLenInByte = 1160
; NumSgprs: 29
; NumVgprs: 52
; NumAgprs: 0
; TotalNumVgprs: 52
; ScratchSize: 0
; MemoryBound: 0
; FloatMode: 240
; IeeeMode: 1
; LDSByteSize: 0 bytes/workgroup (compile time only)
; SGPRBlocks: 3
; VGPRBlocks: 6
; NumSGPRsForWavesPerEU: 29
; NumVGPRsForWavesPerEU: 52
; AccumOffset: 52
; Occupancy: 8
; WaveLimiterHint : 0
; COMPUTE_PGM_RSRC2:SCRATCH_EN: 0
; COMPUTE_PGM_RSRC2:USER_SGPR: 6
; COMPUTE_PGM_RSRC2:TRAP_HANDLER: 0
; COMPUTE_PGM_RSRC2:TGID_X_EN: 1
; COMPUTE_PGM_RSRC2:TGID_Y_EN: 0
; COMPUTE_PGM_RSRC2:TGID_Z_EN: 0
; COMPUTE_PGM_RSRC2:TIDIG_COMP_CNT: 0
; COMPUTE_PGM_RSRC3_GFX90A:ACCUM_OFFSET: 12
; COMPUTE_PGM_RSRC3_GFX90A:TG_SPLIT: 0
	.section	.text._ZN4vllm18act_and_mul_kernelIN3c104HalfE7__half2TnPFT_RKS4_EXadL_ZNS_11silu_kernelIS2_EES4_S6_EETnPFT0_RKSA_EXadL_ZNS_18packed_silu_kernelIS3_EES4_S6_EELb1ELb1ELb1ELb0EEEvPS4_PS5_if,"axG",@progbits,_ZN4vllm18act_and_mul_kernelIN3c104HalfE7__half2TnPFT_RKS4_EXadL_ZNS_11silu_kernelIS2_EES4_S6_EETnPFT0_RKSA_EXadL_ZNS_18packed_silu_kernelIS3_EES4_S6_EELb1ELb1ELb1ELb0EEEvPS4_PS5_if,comdat
	.protected	_ZN4vllm18act_and_mul_kernelIN3c104HalfE7__half2TnPFT_RKS4_EXadL_ZNS_11silu_kernelIS2_EES4_S6_EETnPFT0_RKSA_EXadL_ZNS_18packed_silu_kernelIS3_EES4_S6_EELb1ELb1ELb1ELb0EEEvPS4_PS5_if ; -- Begin function _ZN4vllm18act_and_mul_kernelIN3c104HalfE7__half2TnPFT_RKS4_EXadL_ZNS_11silu_kernelIS2_EES4_S6_EETnPFT0_RKSA_EXadL_ZNS_18packed_silu_kernelIS3_EES4_S6_EELb1ELb1ELb1ELb0EEEvPS4_PS5_if
	.globl	_ZN4vllm18act_and_mul_kernelIN3c104HalfE7__half2TnPFT_RKS4_EXadL_ZNS_11silu_kernelIS2_EES4_S6_EETnPFT0_RKSA_EXadL_ZNS_18packed_silu_kernelIS3_EES4_S6_EELb1ELb1ELb1ELb0EEEvPS4_PS5_if
	.p2align	8
	.type	_ZN4vllm18act_and_mul_kernelIN3c104HalfE7__half2TnPFT_RKS4_EXadL_ZNS_11silu_kernelIS2_EES4_S6_EETnPFT0_RKSA_EXadL_ZNS_18packed_silu_kernelIS3_EES4_S6_EELb1ELb1ELb1ELb0EEEvPS4_PS5_if,@function
_ZN4vllm18act_and_mul_kernelIN3c104HalfE7__half2TnPFT_RKS4_EXadL_ZNS_11silu_kernelIS2_EES4_S6_EETnPFT0_RKSA_EXadL_ZNS_18packed_silu_kernelIS3_EES4_S6_EELb1ELb1ELb1ELb0EEEvPS4_PS5_if: ; @_ZN4vllm18act_and_mul_kernelIN3c104HalfE7__half2TnPFT_RKS4_EXadL_ZNS_11silu_kernelIS2_EES4_S6_EETnPFT0_RKSA_EXadL_ZNS_18packed_silu_kernelIS3_EES4_S6_EELb1ELb1ELb1ELb0EEEvPS4_PS5_if
; %bb.0:
	s_load_dwordx2 s[2:3], s[4:5], 0x10
	s_waitcnt lgkmcnt(0)
	s_ashr_i32 s1, s2, 31
	s_lshr_b32 s0, s1, 29
	s_add_i32 s0, s2, s0
	s_ashr_i32 s7, s0, 3
	v_cmp_gt_i32_e32 vcc, s7, v0
	s_and_saveexec_b64 s[8:9], vcc
	s_cbranch_execz .LBB15_3
; %bb.1:
	s_mul_i32 s12, s6, s2
	s_load_dwordx4 s[8:11], s[4:5], 0x0
	s_load_dword s6, s[4:5], 0x24
	s_lshl_b32 s14, s12, 1
	s_mov_b32 s15, 0
	s_mov_b32 s0, s2
	;; [unrolled: 1-line block ×3, first 2 shown]
	s_xor_b32 s2, s3, 0x80000000
	s_waitcnt lgkmcnt(0)
	s_and_b32 s4, s6, 0xffff
	s_lshl_b64 s[14:15], s[14:15], 1
	s_add_u32 s5, s10, s14
	v_lshlrev_b32_e32 v2, 4, v0
	s_addc_u32 s10, s11, s15
	v_mov_b32_e32 v3, s10
	v_add_co_u32_e32 v1, vcc, s5, v2
	v_addc_co_u32_e32 v10, vcc, 0, v3, vcc
	s_lshl_b64 s[0:1], s[0:1], 1
	s_lshl_b32 s5, s4, 4
	v_mov_b32_e32 v3, s1
	v_add_co_u32_e32 v11, vcc, s0, v1
	s_lshl_b64 s[0:1], s[12:13], 1
	s_add_u32 s0, s8, s0
	v_addc_co_u32_e32 v12, vcc, v10, v3, vcc
	s_addc_u32 s1, s9, s1
	s_mov_b32 s6, s3
	s_mov_b32 s16, s2
	v_mov_b32_e32 v3, s1
	v_add_co_u32_e32 v13, vcc, s0, v2
	v_addc_co_u32_e32 v14, vcc, 0, v3, vcc
	s_mov_b64 s[0:1], 0
	v_max_f32_e64 v15, s6, s6
	v_max_f32_e64 v16, s3, s3
	;; [unrolled: 1-line block ×4, first 2 shown]
	s_mov_b32 s6, 0xbfb8aa3b
	s_mov_b32 s8, 0xb2a5705f
	;; [unrolled: 1-line block ×4, first 2 shown]
	v_mov_b32_e32 v19, 0x7f800000
	s_mov_b64 s[2:3], 0
.LBB15_2:                               ; =>This Inner Loop Header: Depth=1
	v_add_co_u32_e32 v2, vcc, s2, v1
	v_mov_b32_e32 v20, s3
	v_addc_co_u32_e32 v3, vcc, v10, v20, vcc
	v_add_co_u32_e32 v6, vcc, s2, v11
	v_addc_co_u32_e32 v7, vcc, v12, v20, vcc
	global_load_dwordx4 v[2:5], v[2:3], off
	v_add_u32_e32 v0, s4, v0
	global_load_dwordx4 v[6:9], v[6:7], off
	s_waitcnt vmcnt(0)
	v_cvt_f32_f16_sdwa v21, v6 dst_sel:DWORD dst_unused:UNUSED_PAD src0_sel:WORD_1
	v_cvt_f32_f16_e32 v6, v6
	v_min_f32_e32 v21, v21, v16
	v_min_f32_e32 v6, v6, v15
	v_max_f32_e32 v21, v21, v17
	v_max_f32_e32 v6, v6, v18
	v_cvt_f16_f32_e32 v6, v6
	v_cvt_f16_f32_e32 v21, v21
	v_pack_b32_f16 v6, v6, v21
	v_cvt_f32_f16_e32 v21, v2
	v_cvt_f32_f16_sdwa v2, v2 dst_sel:DWORD dst_unused:UNUSED_PAD src0_sel:WORD_1
	v_min_f32_e32 v21, v21, v15
	v_cvt_f16_f32_e32 v21, v21
	v_min_f32_e32 v2, v2, v16
	v_cvt_f16_f32_e32 v2, v2
	v_cvt_f32_f16_e32 v25, v21
	v_cvt_f32_f16_e32 v24, v2
	v_mul_f32_e32 v22, 0xbfb8aa3b, v25
	v_fma_mix_f32 v23, v21, s6, -v22 op_sel_hi:[1,0,0]
	v_fma_mix_f32 v21, v21, s8, v23 op_sel_hi:[1,0,0]
	v_rndne_f32_e32 v23, v22
	v_sub_f32_e32 v22, v22, v23
	v_add_f32_e32 v21, v22, v21
	v_exp_f32_e32 v21, v21
	v_cvt_i32_f32_e32 v22, v23
	v_cmp_nlt_f32_e32 vcc, s9, v25
	v_ldexp_f32 v21, v21, v22
	v_cndmask_b32_e32 v21, 0, v21, vcc
	v_cmp_ngt_f32_e32 vcc, s10, v25
	v_cndmask_b32_e32 v22, v19, v21, vcc
	v_mul_f32_e32 v21, 0xbfb8aa3b, v24
	v_fma_mix_f32 v23, v2, s6, -v21 op_sel_hi:[1,0,0]
	v_fma_mix_f32 v2, v2, s8, v23 op_sel_hi:[1,0,0]
	v_rndne_f32_e32 v23, v21
	v_sub_f32_e32 v21, v21, v23
	v_add_f32_e32 v2, v21, v2
	v_exp_f32_e32 v2, v2
	v_cvt_i32_f32_e32 v21, v23
	v_cmp_nlt_f32_e32 vcc, s9, v24
	v_ldexp_f32 v2, v2, v21
	v_cndmask_b32_e32 v2, 0, v2, vcc
	v_cmp_ngt_f32_e32 vcc, s10, v24
	v_cndmask_b32_e32 v23, v19, v2, vcc
	v_pk_add_f32 v[22:23], v[22:23], 1.0 op_sel_hi:[1,0]
	v_div_scale_f32 v2, s[12:13], v22, v22, v25
	v_rcp_f32_e32 v21, v2
	v_fma_f32 v26, -v2, v21, 1.0
	v_fmac_f32_e32 v21, v26, v21
	v_div_scale_f32 v26, vcc, v25, v22, v25
	v_mul_f32_e32 v27, v26, v21
	v_fma_f32 v28, -v2, v27, v26
	v_fmac_f32_e32 v27, v28, v21
	v_fma_f32 v2, -v2, v27, v26
	v_div_fmas_f32 v2, v2, v21, v27
	v_div_scale_f32 v21, s[12:13], v23, v23, v24
	v_div_fixup_f32 v2, v2, v22, v25
	v_rcp_f32_e32 v22, v21
	v_cvt_f16_f32_e32 v2, v2
	v_fma_f32 v25, -v21, v22, 1.0
	v_fmac_f32_e32 v22, v25, v22
	v_div_scale_f32 v25, vcc, v24, v23, v24
	v_mul_f32_e32 v26, v25, v22
	v_fma_f32 v27, -v21, v26, v25
	v_fmac_f32_e32 v26, v27, v22
	v_fma_f32 v21, -v21, v26, v25
	v_div_fmas_f32 v21, v21, v22, v26
	v_div_fixup_f32 v21, v21, v23, v24
	v_cvt_f16_f32_e32 v21, v21
	v_pack_b32_f16 v2, v2, v21
	v_pk_mul_f16 v2, v6, v2
	v_cvt_f32_f16_sdwa v6, v7 dst_sel:DWORD dst_unused:UNUSED_PAD src0_sel:WORD_1
	v_cvt_f32_f16_e32 v7, v7
	v_min_f32_e32 v6, v6, v16
	v_min_f32_e32 v7, v7, v15
	v_max_f32_e32 v6, v6, v17
	v_max_f32_e32 v7, v7, v18
	v_cvt_f16_f32_e32 v7, v7
	v_cvt_f16_f32_e32 v6, v6
	v_pack_b32_f16 v21, v7, v6
	v_cvt_f32_f16_e32 v6, v3
	v_cvt_f32_f16_sdwa v3, v3 dst_sel:DWORD dst_unused:UNUSED_PAD src0_sel:WORD_1
	v_min_f32_e32 v6, v6, v15
	v_cvt_f16_f32_e32 v6, v6
	v_min_f32_e32 v3, v3, v16
	v_cvt_f16_f32_e32 v3, v3
	v_cvt_f32_f16_e32 v23, v6
	v_cvt_f32_f16_e32 v22, v3
	v_mul_f32_e32 v7, 0xbfb8aa3b, v23
	v_fma_mix_f32 v24, v6, s6, -v7 op_sel_hi:[1,0,0]
	v_fma_mix_f32 v6, v6, s8, v24 op_sel_hi:[1,0,0]
	v_rndne_f32_e32 v24, v7
	v_sub_f32_e32 v7, v7, v24
	v_add_f32_e32 v6, v7, v6
	v_exp_f32_e32 v6, v6
	v_cvt_i32_f32_e32 v7, v24
	v_cmp_nlt_f32_e32 vcc, s9, v23
	v_ldexp_f32 v6, v6, v7
	v_mul_f32_e32 v7, 0xbfb8aa3b, v22
	v_fma_mix_f32 v24, v3, s6, -v7 op_sel_hi:[1,0,0]
	v_fma_mix_f32 v3, v3, s8, v24 op_sel_hi:[1,0,0]
	v_rndne_f32_e32 v24, v7
	v_sub_f32_e32 v7, v7, v24
	v_add_f32_e32 v3, v7, v3
	v_exp_f32_e32 v3, v3
	v_cvt_i32_f32_e32 v7, v24
	v_cndmask_b32_e32 v6, 0, v6, vcc
	v_cmp_ngt_f32_e32 vcc, s10, v23
	v_cndmask_b32_e32 v6, v19, v6, vcc
	v_ldexp_f32 v3, v3, v7
	v_cmp_nlt_f32_e32 vcc, s9, v22
	v_cndmask_b32_e32 v3, 0, v3, vcc
	v_cmp_ngt_f32_e32 vcc, s10, v22
	v_cndmask_b32_e32 v7, v19, v3, vcc
	v_pk_add_f32 v[6:7], v[6:7], 1.0 op_sel_hi:[1,0]
	v_div_scale_f32 v3, s[12:13], v6, v6, v23
	v_rcp_f32_e32 v24, v3
	v_fma_f32 v25, -v3, v24, 1.0
	v_fmac_f32_e32 v24, v25, v24
	v_div_scale_f32 v25, vcc, v23, v6, v23
	v_mul_f32_e32 v26, v25, v24
	v_fma_f32 v27, -v3, v26, v25
	v_fmac_f32_e32 v26, v27, v24
	v_fma_f32 v3, -v3, v26, v25
	v_div_fmas_f32 v3, v3, v24, v26
	v_div_fixup_f32 v3, v3, v6, v23
	v_div_scale_f32 v6, s[12:13], v7, v7, v22
	v_rcp_f32_e32 v23, v6
	v_cvt_f16_f32_e32 v3, v3
	v_fma_f32 v24, -v6, v23, 1.0
	v_fmac_f32_e32 v23, v24, v23
	v_div_scale_f32 v24, vcc, v22, v7, v22
	v_mul_f32_e32 v25, v24, v23
	v_fma_f32 v26, -v6, v25, v24
	v_fmac_f32_e32 v25, v26, v23
	v_fma_f32 v6, -v6, v25, v24
	v_div_fmas_f32 v6, v6, v23, v25
	v_div_fixup_f32 v6, v6, v7, v22
	v_cvt_f16_f32_e32 v6, v6
	v_cvt_f32_f16_e32 v7, v8
	v_pack_b32_f16 v3, v3, v6
	v_cvt_f32_f16_sdwa v6, v8 dst_sel:DWORD dst_unused:UNUSED_PAD src0_sel:WORD_1
	v_min_f32_e32 v7, v7, v15
	v_max_f32_e32 v7, v7, v18
	v_cvt_f16_f32_e32 v7, v7
	v_min_f32_e32 v6, v6, v16
	v_max_f32_e32 v6, v6, v17
	v_cvt_f16_f32_e32 v6, v6
	v_pk_mul_f16 v3, v21, v3
	v_pack_b32_f16 v8, v7, v6
	v_cvt_f32_f16_e32 v6, v4
	v_cvt_f32_f16_sdwa v4, v4 dst_sel:DWORD dst_unused:UNUSED_PAD src0_sel:WORD_1
	v_min_f32_e32 v6, v6, v15
	v_cvt_f16_f32_e32 v6, v6
	v_min_f32_e32 v4, v4, v16
	v_cvt_f16_f32_e32 v4, v4
	v_cvt_f32_f16_e32 v22, v6
	v_cvt_f32_f16_e32 v21, v4
	v_mul_f32_e32 v7, 0xbfb8aa3b, v22
	v_fma_mix_f32 v23, v6, s6, -v7 op_sel_hi:[1,0,0]
	v_fma_mix_f32 v6, v6, s8, v23 op_sel_hi:[1,0,0]
	v_rndne_f32_e32 v23, v7
	v_sub_f32_e32 v7, v7, v23
	v_add_f32_e32 v6, v7, v6
	v_exp_f32_e32 v6, v6
	v_cvt_i32_f32_e32 v7, v23
	v_cmp_nlt_f32_e32 vcc, s9, v22
	v_ldexp_f32 v6, v6, v7
	v_mul_f32_e32 v7, 0xbfb8aa3b, v21
	v_fma_mix_f32 v23, v4, s6, -v7 op_sel_hi:[1,0,0]
	v_fma_mix_f32 v4, v4, s8, v23 op_sel_hi:[1,0,0]
	v_rndne_f32_e32 v23, v7
	v_sub_f32_e32 v7, v7, v23
	v_add_f32_e32 v4, v7, v4
	v_exp_f32_e32 v4, v4
	v_cvt_i32_f32_e32 v7, v23
	v_cndmask_b32_e32 v6, 0, v6, vcc
	v_cmp_ngt_f32_e32 vcc, s10, v22
	v_cndmask_b32_e32 v6, v19, v6, vcc
	v_ldexp_f32 v4, v4, v7
	v_cmp_nlt_f32_e32 vcc, s9, v21
	v_cndmask_b32_e32 v4, 0, v4, vcc
	v_cmp_ngt_f32_e32 vcc, s10, v21
	v_cndmask_b32_e32 v7, v19, v4, vcc
	v_pk_add_f32 v[6:7], v[6:7], 1.0 op_sel_hi:[1,0]
	v_div_scale_f32 v4, s[12:13], v6, v6, v22
	v_rcp_f32_e32 v23, v4
	v_fma_f32 v24, -v4, v23, 1.0
	v_fmac_f32_e32 v23, v24, v23
	v_div_scale_f32 v24, vcc, v22, v6, v22
	v_mul_f32_e32 v25, v24, v23
	v_fma_f32 v26, -v4, v25, v24
	v_fmac_f32_e32 v25, v26, v23
	v_fma_f32 v4, -v4, v25, v24
	v_div_fmas_f32 v4, v4, v23, v25
	v_div_fixup_f32 v4, v4, v6, v22
	v_div_scale_f32 v6, s[12:13], v7, v7, v21
	v_rcp_f32_e32 v22, v6
	v_cvt_f16_f32_e32 v4, v4
	v_fma_f32 v23, -v6, v22, 1.0
	v_fmac_f32_e32 v22, v23, v22
	v_div_scale_f32 v23, vcc, v21, v7, v21
	v_mul_f32_e32 v24, v23, v22
	v_fma_f32 v25, -v6, v24, v23
	v_fmac_f32_e32 v24, v25, v22
	v_fma_f32 v6, -v6, v24, v23
	v_div_fmas_f32 v6, v6, v22, v24
	v_div_fixup_f32 v6, v6, v7, v21
	v_cvt_f16_f32_e32 v6, v6
	v_cvt_f32_f16_e32 v7, v9
	v_pack_b32_f16 v4, v4, v6
	v_cvt_f32_f16_sdwa v6, v9 dst_sel:DWORD dst_unused:UNUSED_PAD src0_sel:WORD_1
	v_min_f32_e32 v7, v7, v15
	v_max_f32_e32 v7, v7, v18
	v_cvt_f16_f32_e32 v7, v7
	v_min_f32_e32 v6, v6, v16
	v_max_f32_e32 v6, v6, v17
	v_cvt_f16_f32_e32 v6, v6
	v_pk_mul_f16 v4, v8, v4
	v_pack_b32_f16 v8, v7, v6
	v_cvt_f32_f16_e32 v6, v5
	v_cvt_f32_f16_sdwa v5, v5 dst_sel:DWORD dst_unused:UNUSED_PAD src0_sel:WORD_1
	v_min_f32_e32 v6, v6, v15
	v_cvt_f16_f32_e32 v6, v6
	v_min_f32_e32 v5, v5, v16
	v_cvt_f16_f32_e32 v5, v5
	v_cvt_f32_f16_e32 v21, v6
	v_cvt_f32_f16_e32 v9, v5
	v_mul_f32_e32 v7, 0xbfb8aa3b, v21
	v_fma_mix_f32 v22, v6, s6, -v7 op_sel_hi:[1,0,0]
	v_fma_mix_f32 v6, v6, s8, v22 op_sel_hi:[1,0,0]
	v_rndne_f32_e32 v22, v7
	v_sub_f32_e32 v7, v7, v22
	v_add_f32_e32 v6, v7, v6
	v_exp_f32_e32 v6, v6
	v_cvt_i32_f32_e32 v7, v22
	v_cmp_nlt_f32_e32 vcc, s9, v21
	v_ldexp_f32 v6, v6, v7
	v_mul_f32_e32 v7, 0xbfb8aa3b, v9
	v_fma_mix_f32 v22, v5, s6, -v7 op_sel_hi:[1,0,0]
	v_fma_mix_f32 v5, v5, s8, v22 op_sel_hi:[1,0,0]
	v_rndne_f32_e32 v22, v7
	v_sub_f32_e32 v7, v7, v22
	v_add_f32_e32 v5, v7, v5
	v_exp_f32_e32 v5, v5
	v_cvt_i32_f32_e32 v7, v22
	v_cndmask_b32_e32 v6, 0, v6, vcc
	v_cmp_ngt_f32_e32 vcc, s10, v21
	v_cndmask_b32_e32 v6, v19, v6, vcc
	v_ldexp_f32 v5, v5, v7
	v_cmp_nlt_f32_e32 vcc, s9, v9
	v_cndmask_b32_e32 v5, 0, v5, vcc
	v_cmp_ngt_f32_e32 vcc, s10, v9
	v_cndmask_b32_e32 v7, v19, v5, vcc
	v_pk_add_f32 v[6:7], v[6:7], 1.0 op_sel_hi:[1,0]
	v_div_scale_f32 v5, s[12:13], v6, v6, v21
	v_rcp_f32_e32 v22, v5
	v_fma_f32 v23, -v5, v22, 1.0
	v_fmac_f32_e32 v22, v23, v22
	v_div_scale_f32 v23, vcc, v21, v6, v21
	v_mul_f32_e32 v24, v23, v22
	v_fma_f32 v25, -v5, v24, v23
	v_fmac_f32_e32 v24, v25, v22
	v_fma_f32 v5, -v5, v24, v23
	v_div_fmas_f32 v5, v5, v22, v24
	v_div_fixup_f32 v5, v5, v6, v21
	v_div_scale_f32 v6, s[12:13], v7, v7, v9
	v_rcp_f32_e32 v21, v6
	v_cvt_f16_f32_e32 v5, v5
	v_fma_f32 v22, -v6, v21, 1.0
	v_fmac_f32_e32 v21, v22, v21
	v_div_scale_f32 v22, vcc, v9, v7, v9
	v_mul_f32_e32 v23, v22, v21
	v_fma_f32 v24, -v6, v23, v22
	v_fmac_f32_e32 v23, v24, v21
	v_fma_f32 v6, -v6, v23, v22
	v_div_fmas_f32 v6, v6, v21, v23
	v_div_fixup_f32 v6, v6, v7, v9
	v_cvt_f16_f32_e32 v6, v6
	v_pack_b32_f16 v5, v5, v6
	v_add_co_u32_e32 v6, vcc, s2, v13
	v_addc_co_u32_e32 v7, vcc, v14, v20, vcc
	s_add_u32 s2, s2, s5
	s_addc_u32 s3, s3, 0
	v_cmp_le_i32_e32 vcc, s7, v0
	v_pk_mul_f16 v5, v8, v5
	s_or_b64 s[0:1], vcc, s[0:1]
	global_store_dwordx4 v[6:7], v[2:5], off
	s_andn2_b64 exec, exec, s[0:1]
	s_cbranch_execnz .LBB15_2
.LBB15_3:
	s_endpgm
	.section	.rodata,"a",@progbits
	.p2align	6, 0x0
	.amdhsa_kernel _ZN4vllm18act_and_mul_kernelIN3c104HalfE7__half2TnPFT_RKS4_EXadL_ZNS_11silu_kernelIS2_EES4_S6_EETnPFT0_RKSA_EXadL_ZNS_18packed_silu_kernelIS3_EES4_S6_EELb1ELb1ELb1ELb0EEEvPS4_PS5_if
		.amdhsa_group_segment_fixed_size 0
		.amdhsa_private_segment_fixed_size 0
		.amdhsa_kernarg_size 280
		.amdhsa_user_sgpr_count 6
		.amdhsa_user_sgpr_private_segment_buffer 1
		.amdhsa_user_sgpr_dispatch_ptr 0
		.amdhsa_user_sgpr_queue_ptr 0
		.amdhsa_user_sgpr_kernarg_segment_ptr 1
		.amdhsa_user_sgpr_dispatch_id 0
		.amdhsa_user_sgpr_flat_scratch_init 0
		.amdhsa_user_sgpr_kernarg_preload_length 0
		.amdhsa_user_sgpr_kernarg_preload_offset 0
		.amdhsa_user_sgpr_private_segment_size 0
		.amdhsa_uses_dynamic_stack 0
		.amdhsa_system_sgpr_private_segment_wavefront_offset 0
		.amdhsa_system_sgpr_workgroup_id_x 1
		.amdhsa_system_sgpr_workgroup_id_y 0
		.amdhsa_system_sgpr_workgroup_id_z 0
		.amdhsa_system_sgpr_workgroup_info 0
		.amdhsa_system_vgpr_workitem_id 0
		.amdhsa_next_free_vgpr 29
		.amdhsa_next_free_sgpr 17
		.amdhsa_accum_offset 32
		.amdhsa_reserve_vcc 1
		.amdhsa_reserve_flat_scratch 0
		.amdhsa_float_round_mode_32 0
		.amdhsa_float_round_mode_16_64 0
		.amdhsa_float_denorm_mode_32 3
		.amdhsa_float_denorm_mode_16_64 3
		.amdhsa_dx10_clamp 1
		.amdhsa_ieee_mode 1
		.amdhsa_fp16_overflow 0
		.amdhsa_tg_split 0
		.amdhsa_exception_fp_ieee_invalid_op 0
		.amdhsa_exception_fp_denorm_src 0
		.amdhsa_exception_fp_ieee_div_zero 0
		.amdhsa_exception_fp_ieee_overflow 0
		.amdhsa_exception_fp_ieee_underflow 0
		.amdhsa_exception_fp_ieee_inexact 0
		.amdhsa_exception_int_div_zero 0
	.end_amdhsa_kernel
	.section	.text._ZN4vllm18act_and_mul_kernelIN3c104HalfE7__half2TnPFT_RKS4_EXadL_ZNS_11silu_kernelIS2_EES4_S6_EETnPFT0_RKSA_EXadL_ZNS_18packed_silu_kernelIS3_EES4_S6_EELb1ELb1ELb1ELb0EEEvPS4_PS5_if,"axG",@progbits,_ZN4vllm18act_and_mul_kernelIN3c104HalfE7__half2TnPFT_RKS4_EXadL_ZNS_11silu_kernelIS2_EES4_S6_EETnPFT0_RKSA_EXadL_ZNS_18packed_silu_kernelIS3_EES4_S6_EELb1ELb1ELb1ELb0EEEvPS4_PS5_if,comdat
.Lfunc_end15:
	.size	_ZN4vllm18act_and_mul_kernelIN3c104HalfE7__half2TnPFT_RKS4_EXadL_ZNS_11silu_kernelIS2_EES4_S6_EETnPFT0_RKSA_EXadL_ZNS_18packed_silu_kernelIS3_EES4_S6_EELb1ELb1ELb1ELb0EEEvPS4_PS5_if, .Lfunc_end15-_ZN4vllm18act_and_mul_kernelIN3c104HalfE7__half2TnPFT_RKS4_EXadL_ZNS_11silu_kernelIS2_EES4_S6_EETnPFT0_RKSA_EXadL_ZNS_18packed_silu_kernelIS3_EES4_S6_EELb1ELb1ELb1ELb0EEEvPS4_PS5_if
                                        ; -- End function
	.section	.AMDGPU.csdata,"",@progbits
; Kernel info:
; codeLenInByte = 1912
; NumSgprs: 21
; NumVgprs: 29
; NumAgprs: 0
; TotalNumVgprs: 29
; ScratchSize: 0
; MemoryBound: 0
; FloatMode: 240
; IeeeMode: 1
; LDSByteSize: 0 bytes/workgroup (compile time only)
; SGPRBlocks: 2
; VGPRBlocks: 3
; NumSGPRsForWavesPerEU: 21
; NumVGPRsForWavesPerEU: 29
; AccumOffset: 32
; Occupancy: 8
; WaveLimiterHint : 0
; COMPUTE_PGM_RSRC2:SCRATCH_EN: 0
; COMPUTE_PGM_RSRC2:USER_SGPR: 6
; COMPUTE_PGM_RSRC2:TRAP_HANDLER: 0
; COMPUTE_PGM_RSRC2:TGID_X_EN: 1
; COMPUTE_PGM_RSRC2:TGID_Y_EN: 0
; COMPUTE_PGM_RSRC2:TGID_Z_EN: 0
; COMPUTE_PGM_RSRC2:TIDIG_COMP_CNT: 0
; COMPUTE_PGM_RSRC3_GFX90A:ACCUM_OFFSET: 7
; COMPUTE_PGM_RSRC3_GFX90A:TG_SPLIT: 0
	.section	.text._ZN4vllm18act_and_mul_kernelIN3c108BFloat16E15__hip_bfloat162TnPFT_RKS4_EXadL_ZNS_11silu_kernelIS2_EES4_S6_EETnPFT0_RKSA_EXadL_ZNS_18packed_silu_kernelIS3_EES4_S6_EELb1ELb1ELb1ELb0EEEvPS4_PS5_if,"axG",@progbits,_ZN4vllm18act_and_mul_kernelIN3c108BFloat16E15__hip_bfloat162TnPFT_RKS4_EXadL_ZNS_11silu_kernelIS2_EES4_S6_EETnPFT0_RKSA_EXadL_ZNS_18packed_silu_kernelIS3_EES4_S6_EELb1ELb1ELb1ELb0EEEvPS4_PS5_if,comdat
	.protected	_ZN4vllm18act_and_mul_kernelIN3c108BFloat16E15__hip_bfloat162TnPFT_RKS4_EXadL_ZNS_11silu_kernelIS2_EES4_S6_EETnPFT0_RKSA_EXadL_ZNS_18packed_silu_kernelIS3_EES4_S6_EELb1ELb1ELb1ELb0EEEvPS4_PS5_if ; -- Begin function _ZN4vllm18act_and_mul_kernelIN3c108BFloat16E15__hip_bfloat162TnPFT_RKS4_EXadL_ZNS_11silu_kernelIS2_EES4_S6_EETnPFT0_RKSA_EXadL_ZNS_18packed_silu_kernelIS3_EES4_S6_EELb1ELb1ELb1ELb0EEEvPS4_PS5_if
	.globl	_ZN4vllm18act_and_mul_kernelIN3c108BFloat16E15__hip_bfloat162TnPFT_RKS4_EXadL_ZNS_11silu_kernelIS2_EES4_S6_EETnPFT0_RKSA_EXadL_ZNS_18packed_silu_kernelIS3_EES4_S6_EELb1ELb1ELb1ELb0EEEvPS4_PS5_if
	.p2align	8
	.type	_ZN4vllm18act_and_mul_kernelIN3c108BFloat16E15__hip_bfloat162TnPFT_RKS4_EXadL_ZNS_11silu_kernelIS2_EES4_S6_EETnPFT0_RKSA_EXadL_ZNS_18packed_silu_kernelIS3_EES4_S6_EELb1ELb1ELb1ELb0EEEvPS4_PS5_if,@function
_ZN4vllm18act_and_mul_kernelIN3c108BFloat16E15__hip_bfloat162TnPFT_RKS4_EXadL_ZNS_11silu_kernelIS2_EES4_S6_EETnPFT0_RKSA_EXadL_ZNS_18packed_silu_kernelIS3_EES4_S6_EELb1ELb1ELb1ELb0EEEvPS4_PS5_if: ; @_ZN4vllm18act_and_mul_kernelIN3c108BFloat16E15__hip_bfloat162TnPFT_RKS4_EXadL_ZNS_11silu_kernelIS2_EES4_S6_EETnPFT0_RKSA_EXadL_ZNS_18packed_silu_kernelIS3_EES4_S6_EELb1ELb1ELb1ELb0EEEvPS4_PS5_if
; %bb.0:
	s_load_dwordx2 s[2:3], s[4:5], 0x10
	s_waitcnt lgkmcnt(0)
	s_ashr_i32 s1, s2, 31
	s_lshr_b32 s0, s1, 29
	s_add_i32 s0, s2, s0
	s_ashr_i32 s7, s0, 3
	v_cmp_gt_i32_e32 vcc, s7, v0
	s_and_saveexec_b64 s[8:9], vcc
	s_cbranch_execz .LBB16_131
; %bb.1:
	s_mul_i32 s10, s6, s2
	s_load_dwordx4 s[12:15], s[4:5], 0x0
	s_load_dword s6, s[4:5], 0x24
	s_lshl_b32 s4, s10, 1
	s_mov_b32 s5, 0
	s_mov_b32 s11, s5
	s_lshl_b64 s[4:5], s[4:5], 1
	s_waitcnt lgkmcnt(0)
	s_and_b32 s6, s6, 0xffff
	s_mov_b32 s0, s2
	s_add_u32 s2, s14, s4
	v_lshlrev_b32_e32 v2, 4, v0
	s_addc_u32 s4, s15, s5
	v_mov_b32_e32 v3, s4
	v_add_co_u32_e32 v1, vcc, s2, v2
	v_addc_co_u32_e32 v10, vcc, 0, v3, vcc
	s_lshl_b64 s[0:1], s[0:1], 1
	s_lshl_b32 s8, s6, 4
	v_mov_b32_e32 v3, s1
	v_add_co_u32_e32 v11, vcc, s0, v1
	s_lshl_b64 s[0:1], s[10:11], 1
	s_add_u32 s0, s12, s0
	v_addc_co_u32_e32 v12, vcc, v10, v3, vcc
	s_addc_u32 s1, s13, s1
	v_mov_b32_e32 v3, s1
	v_add_co_u32_e32 v13, vcc, s0, v2
	v_addc_co_u32_e32 v14, vcc, 0, v3, vcc
	s_mov_b64 s[0:1], 0
	v_max_f32_e64 v15, s3, s3
	s_mov_b32 s9, 0x7f800000
	s_movk_i32 s10, 0x7fff
	v_max_f32_e64 v16, -s3, -s3
	s_mov_b32 s11, 0xbfb8aa3b
	s_mov_b32 s12, 0x42ce8ed0
	;; [unrolled: 1-line block ×3, first 2 shown]
	v_mov_b32_e32 v17, 0x7f800000
	s_mov_b32 s14, 0x7060302
	v_mov_b32_e32 v18, 0
	s_mov_b64 s[2:3], 0
	s_branch .LBB16_3
.LBB16_2:                               ;   in Loop: Header=BB16_3 Depth=1
	s_or_b64 exec, exec, s[4:5]
	v_perm_b32 v3, v7, v3, s14
	v_perm_b32 v2, v6, v2, s14
	v_mov_b32_e32 v7, s3
	v_add_co_u32_e32 v6, vcc, s2, v13
	v_addc_co_u32_e32 v7, vcc, v14, v7, vcc
	v_add_u32_e32 v0, s6, v0
	s_add_u32 s2, s2, s8
	s_addc_u32 s3, s3, 0
	v_cmp_le_i32_e32 vcc, s7, v0
	v_perm_b32 v5, v19, v9, s14
	v_perm_b32 v4, v8, v4, s14
	s_or_b64 s[0:1], vcc, s[0:1]
	global_store_dwordx4 v[6:7], v[2:5], off
	s_andn2_b64 exec, exec, s[0:1]
	s_cbranch_execz .LBB16_131
.LBB16_3:                               ; =>This Inner Loop Header: Depth=1
	v_mov_b32_e32 v4, s3
	v_add_co_u32_e32 v2, vcc, s2, v1
	v_addc_co_u32_e32 v3, vcc, v10, v4, vcc
	global_load_dwordx4 v[6:9], v[2:3], off
	v_add_co_u32_e32 v2, vcc, s2, v11
	v_addc_co_u32_e32 v3, vcc, v12, v4, vcc
	global_load_dwordx4 v[2:5], v[2:3], off
                                        ; implicit-def: $vgpr21
	s_waitcnt vmcnt(1)
	v_lshlrev_b32_e32 v19, 16, v6
	v_max_f32_e32 v19, v19, v19
	v_min_f32_e32 v19, v19, v15
	v_and_b32_e32 v20, 0x7f800000, v19
	v_cmp_ne_u32_e32 vcc, s9, v20
	s_and_saveexec_b64 s[4:5], vcc
	s_xor_b64 s[4:5], exec, s[4:5]
; %bb.4:                                ;   in Loop: Header=BB16_3 Depth=1
	v_bfe_u32 v20, v19, 16, 1
	v_add3_u32 v21, v19, v20, s10
                                        ; implicit-def: $vgpr19
; %bb.5:                                ;   in Loop: Header=BB16_3 Depth=1
	s_andn2_saveexec_b64 s[4:5], s[4:5]
; %bb.6:                                ;   in Loop: Header=BB16_3 Depth=1
	v_or_b32_e32 v20, 0x10000, v19
	v_cmp_eq_u32_sdwa vcc, v19, v18 src0_sel:WORD_0 src1_sel:DWORD
	v_cndmask_b32_e32 v21, v20, v19, vcc
; %bb.7:                                ;   in Loop: Header=BB16_3 Depth=1
	s_or_b64 exec, exec, s[4:5]
	v_and_b32_e32 v6, 0xffff0000, v6
	v_max_f32_e32 v6, v6, v6
	v_min_f32_e32 v6, v6, v15
	v_and_b32_e32 v19, 0x7f800000, v6
	v_cmp_ne_u32_e32 vcc, s9, v19
                                        ; implicit-def: $vgpr20
	s_and_saveexec_b64 s[4:5], vcc
	s_xor_b64 s[4:5], exec, s[4:5]
; %bb.8:                                ;   in Loop: Header=BB16_3 Depth=1
	v_bfe_u32 v19, v6, 16, 1
	v_add3_u32 v20, v6, v19, s10
                                        ; implicit-def: $vgpr6
; %bb.9:                                ;   in Loop: Header=BB16_3 Depth=1
	s_andn2_saveexec_b64 s[4:5], s[4:5]
; %bb.10:                               ;   in Loop: Header=BB16_3 Depth=1
	v_or_b32_e32 v19, 0x10000, v6
	v_cmp_eq_u32_sdwa vcc, v6, v18 src0_sel:WORD_0 src1_sel:DWORD
	v_cndmask_b32_e32 v20, v19, v6, vcc
; %bb.11:                               ;   in Loop: Header=BB16_3 Depth=1
	s_or_b64 exec, exec, s[4:5]
	s_waitcnt vmcnt(0)
	v_lshlrev_b32_e32 v6, 16, v2
	v_max_f32_e32 v6, v6, v6
	v_min_f32_e32 v6, v6, v15
	v_max_f32_e32 v19, v6, v16
	v_and_b32_e32 v6, 0x7f800000, v19
	v_cmp_ne_u32_e32 vcc, s9, v6
                                        ; implicit-def: $vgpr6
	s_and_saveexec_b64 s[4:5], vcc
	s_xor_b64 s[4:5], exec, s[4:5]
; %bb.12:                               ;   in Loop: Header=BB16_3 Depth=1
	v_bfe_u32 v6, v19, 16, 1
	v_add3_u32 v6, v19, v6, s10
                                        ; implicit-def: $vgpr19
; %bb.13:                               ;   in Loop: Header=BB16_3 Depth=1
	s_andn2_saveexec_b64 s[4:5], s[4:5]
; %bb.14:                               ;   in Loop: Header=BB16_3 Depth=1
	v_or_b32_e32 v6, 0x10000, v19
	v_cmp_eq_u32_sdwa vcc, v19, v18 src0_sel:WORD_0 src1_sel:DWORD
	v_cndmask_b32_e32 v6, v6, v19, vcc
; %bb.15:                               ;   in Loop: Header=BB16_3 Depth=1
	s_or_b64 exec, exec, s[4:5]
	v_and_b32_e32 v2, 0xffff0000, v2
	v_max_f32_e32 v2, v2, v2
	v_min_f32_e32 v2, v2, v15
	v_max_f32_e32 v2, v2, v16
	v_and_b32_e32 v19, 0x7f800000, v2
	v_cmp_ne_u32_e32 vcc, s9, v19
                                        ; implicit-def: $vgpr19
	s_and_saveexec_b64 s[4:5], vcc
	s_xor_b64 s[4:5], exec, s[4:5]
; %bb.16:                               ;   in Loop: Header=BB16_3 Depth=1
	v_bfe_u32 v19, v2, 16, 1
	v_add3_u32 v19, v2, v19, s10
                                        ; implicit-def: $vgpr2
; %bb.17:                               ;   in Loop: Header=BB16_3 Depth=1
	s_andn2_saveexec_b64 s[4:5], s[4:5]
; %bb.18:                               ;   in Loop: Header=BB16_3 Depth=1
	v_or_b32_e32 v19, 0x10000, v2
	v_cmp_eq_u32_sdwa vcc, v2, v18 src0_sel:WORD_0 src1_sel:DWORD
	v_cndmask_b32_e32 v19, v19, v2, vcc
; %bb.19:                               ;   in Loop: Header=BB16_3 Depth=1
	s_or_b64 exec, exec, s[4:5]
	v_and_b32_e32 v2, 0xffff0000, v21
	v_mul_f32_e32 v21, 0xbfb8aa3b, v2
	v_fma_f32 v22, v2, s11, -v21
	v_rndne_f32_e32 v23, v21
	v_fmac_f32_e32 v22, 0xb2a5705f, v2
	v_sub_f32_e32 v21, v21, v23
	v_add_f32_e32 v21, v21, v22
	v_cvt_i32_f32_e32 v22, v23
	v_exp_f32_e32 v21, v21
	v_cmp_nlt_f32_e32 vcc, s12, v2
	v_ldexp_f32 v21, v21, v22
	v_cndmask_b32_e32 v21, 0, v21, vcc
	v_cmp_ngt_f32_e32 vcc, s13, v2
	v_cndmask_b32_e32 v21, v17, v21, vcc
	v_add_f32_e32 v21, 1.0, v21
	v_div_scale_f32 v22, s[4:5], v21, v21, v2
	v_rcp_f32_e32 v23, v22
	v_fma_f32 v24, -v22, v23, 1.0
	v_fmac_f32_e32 v23, v24, v23
	v_div_scale_f32 v24, vcc, v2, v21, v2
	v_mul_f32_e32 v25, v24, v23
	v_fma_f32 v26, -v22, v25, v24
	v_fmac_f32_e32 v25, v26, v23
	v_fma_f32 v22, -v22, v25, v24
	v_div_fmas_f32 v22, v22, v23, v25
	v_div_fixup_f32 v21, v22, v21, v2
	v_and_b32_e32 v2, 0x7f800000, v21
	v_cmp_ne_u32_e32 vcc, s9, v2
                                        ; implicit-def: $vgpr2
	s_and_saveexec_b64 s[4:5], vcc
	s_xor_b64 s[4:5], exec, s[4:5]
; %bb.20:                               ;   in Loop: Header=BB16_3 Depth=1
	v_bfe_u32 v2, v21, 16, 1
	v_add3_u32 v2, v21, v2, s10
                                        ; implicit-def: $vgpr21
; %bb.21:                               ;   in Loop: Header=BB16_3 Depth=1
	s_andn2_saveexec_b64 s[4:5], s[4:5]
; %bb.22:                               ;   in Loop: Header=BB16_3 Depth=1
	v_or_b32_e32 v2, 0x10000, v21
	v_cmp_eq_u32_sdwa vcc, v21, v18 src0_sel:WORD_0 src1_sel:DWORD
	v_cndmask_b32_e32 v2, v2, v21, vcc
; %bb.23:                               ;   in Loop: Header=BB16_3 Depth=1
	s_or_b64 exec, exec, s[4:5]
	v_and_b32_e32 v20, 0xffff0000, v20
	v_mul_f32_e32 v21, 0xbfb8aa3b, v20
	v_fma_f32 v22, v20, s11, -v21
	v_rndne_f32_e32 v23, v21
	v_fmac_f32_e32 v22, 0xb2a5705f, v20
	v_sub_f32_e32 v21, v21, v23
	v_add_f32_e32 v21, v21, v22
	v_cvt_i32_f32_e32 v22, v23
	v_exp_f32_e32 v21, v21
	v_cmp_nlt_f32_e32 vcc, s12, v20
	v_ldexp_f32 v21, v21, v22
	v_cndmask_b32_e32 v21, 0, v21, vcc
	v_cmp_ngt_f32_e32 vcc, s13, v20
	v_cndmask_b32_e32 v21, v17, v21, vcc
	v_add_f32_e32 v21, 1.0, v21
	v_div_scale_f32 v22, s[4:5], v21, v21, v20
	v_rcp_f32_e32 v23, v22
	v_fma_f32 v24, -v22, v23, 1.0
	v_fmac_f32_e32 v23, v24, v23
	v_div_scale_f32 v24, vcc, v20, v21, v20
	v_mul_f32_e32 v25, v24, v23
	v_fma_f32 v26, -v22, v25, v24
	v_fmac_f32_e32 v25, v26, v23
	v_fma_f32 v22, -v22, v25, v24
	v_div_fmas_f32 v22, v22, v23, v25
	v_div_fixup_f32 v21, v22, v21, v20
	v_and_b32_e32 v20, 0x7f800000, v21
	v_cmp_ne_u32_e32 vcc, s9, v20
                                        ; implicit-def: $vgpr20
	s_and_saveexec_b64 s[4:5], vcc
	s_xor_b64 s[4:5], exec, s[4:5]
; %bb.24:                               ;   in Loop: Header=BB16_3 Depth=1
	v_bfe_u32 v20, v21, 16, 1
	v_add3_u32 v20, v21, v20, s10
                                        ; implicit-def: $vgpr21
; %bb.25:                               ;   in Loop: Header=BB16_3 Depth=1
	s_andn2_saveexec_b64 s[4:5], s[4:5]
; %bb.26:                               ;   in Loop: Header=BB16_3 Depth=1
	v_or_b32_e32 v20, 0x10000, v21
	v_cmp_eq_u32_sdwa vcc, v21, v18 src0_sel:WORD_0 src1_sel:DWORD
	v_cndmask_b32_e32 v20, v20, v21, vcc
; %bb.27:                               ;   in Loop: Header=BB16_3 Depth=1
	s_or_b64 exec, exec, s[4:5]
	v_and_b32_e32 v6, 0xffff0000, v6
	v_and_b32_e32 v2, 0xffff0000, v2
	v_mul_f32_e32 v6, v6, v2
	v_and_b32_e32 v2, 0x7f800000, v6
	v_cmp_ne_u32_e32 vcc, s9, v2
                                        ; implicit-def: $vgpr2
	s_and_saveexec_b64 s[4:5], vcc
	s_xor_b64 s[4:5], exec, s[4:5]
; %bb.28:                               ;   in Loop: Header=BB16_3 Depth=1
	v_bfe_u32 v2, v6, 16, 1
	v_add3_u32 v2, v6, v2, s10
                                        ; implicit-def: $vgpr6
; %bb.29:                               ;   in Loop: Header=BB16_3 Depth=1
	s_andn2_saveexec_b64 s[4:5], s[4:5]
; %bb.30:                               ;   in Loop: Header=BB16_3 Depth=1
	v_or_b32_e32 v2, 0x10000, v6
	v_cmp_eq_u32_sdwa vcc, v6, v18 src0_sel:WORD_0 src1_sel:DWORD
	v_cndmask_b32_e32 v2, v2, v6, vcc
; %bb.31:                               ;   in Loop: Header=BB16_3 Depth=1
	s_or_b64 exec, exec, s[4:5]
	v_and_b32_e32 v6, 0xffff0000, v20
	v_and_b32_e32 v19, 0xffff0000, v19
	v_mul_f32_e32 v19, v19, v6
	v_and_b32_e32 v6, 0x7f800000, v19
	v_cmp_ne_u32_e32 vcc, s9, v6
                                        ; implicit-def: $vgpr6
	s_and_saveexec_b64 s[4:5], vcc
	s_xor_b64 s[4:5], exec, s[4:5]
; %bb.32:                               ;   in Loop: Header=BB16_3 Depth=1
	v_bfe_u32 v6, v19, 16, 1
	v_add3_u32 v6, v19, v6, s10
                                        ; implicit-def: $vgpr19
; %bb.33:                               ;   in Loop: Header=BB16_3 Depth=1
	s_andn2_saveexec_b64 s[4:5], s[4:5]
; %bb.34:                               ;   in Loop: Header=BB16_3 Depth=1
	v_or_b32_e32 v6, 0x10000, v19
	v_cmp_eq_u32_sdwa vcc, v19, v18 src0_sel:WORD_0 src1_sel:DWORD
	v_cndmask_b32_e32 v6, v6, v19, vcc
; %bb.35:                               ;   in Loop: Header=BB16_3 Depth=1
	s_or_b64 exec, exec, s[4:5]
	v_lshlrev_b32_e32 v19, 16, v7
	v_max_f32_e32 v19, v19, v19
	v_min_f32_e32 v19, v19, v15
	v_and_b32_e32 v20, 0x7f800000, v19
	v_cmp_ne_u32_e32 vcc, s9, v20
                                        ; implicit-def: $vgpr21
	s_and_saveexec_b64 s[4:5], vcc
	s_xor_b64 s[4:5], exec, s[4:5]
; %bb.36:                               ;   in Loop: Header=BB16_3 Depth=1
	v_bfe_u32 v20, v19, 16, 1
	v_add3_u32 v21, v19, v20, s10
                                        ; implicit-def: $vgpr19
; %bb.37:                               ;   in Loop: Header=BB16_3 Depth=1
	s_andn2_saveexec_b64 s[4:5], s[4:5]
; %bb.38:                               ;   in Loop: Header=BB16_3 Depth=1
	v_or_b32_e32 v20, 0x10000, v19
	v_cmp_eq_u32_sdwa vcc, v19, v18 src0_sel:WORD_0 src1_sel:DWORD
	v_cndmask_b32_e32 v21, v20, v19, vcc
; %bb.39:                               ;   in Loop: Header=BB16_3 Depth=1
	s_or_b64 exec, exec, s[4:5]
	v_and_b32_e32 v7, 0xffff0000, v7
	v_max_f32_e32 v7, v7, v7
	v_min_f32_e32 v7, v7, v15
	v_and_b32_e32 v19, 0x7f800000, v7
	v_cmp_ne_u32_e32 vcc, s9, v19
                                        ; implicit-def: $vgpr20
	s_and_saveexec_b64 s[4:5], vcc
	s_xor_b64 s[4:5], exec, s[4:5]
; %bb.40:                               ;   in Loop: Header=BB16_3 Depth=1
	v_bfe_u32 v19, v7, 16, 1
	v_add3_u32 v20, v7, v19, s10
                                        ; implicit-def: $vgpr7
; %bb.41:                               ;   in Loop: Header=BB16_3 Depth=1
	s_andn2_saveexec_b64 s[4:5], s[4:5]
; %bb.42:                               ;   in Loop: Header=BB16_3 Depth=1
	v_or_b32_e32 v19, 0x10000, v7
	v_cmp_eq_u32_sdwa vcc, v7, v18 src0_sel:WORD_0 src1_sel:DWORD
	v_cndmask_b32_e32 v20, v19, v7, vcc
; %bb.43:                               ;   in Loop: Header=BB16_3 Depth=1
	s_or_b64 exec, exec, s[4:5]
	v_lshlrev_b32_e32 v7, 16, v3
	v_max_f32_e32 v7, v7, v7
	v_min_f32_e32 v7, v7, v15
	v_max_f32_e32 v19, v7, v16
	v_and_b32_e32 v7, 0x7f800000, v19
	v_cmp_ne_u32_e32 vcc, s9, v7
                                        ; implicit-def: $vgpr7
	s_and_saveexec_b64 s[4:5], vcc
	s_xor_b64 s[4:5], exec, s[4:5]
; %bb.44:                               ;   in Loop: Header=BB16_3 Depth=1
	v_bfe_u32 v7, v19, 16, 1
	v_add3_u32 v7, v19, v7, s10
                                        ; implicit-def: $vgpr19
; %bb.45:                               ;   in Loop: Header=BB16_3 Depth=1
	s_andn2_saveexec_b64 s[4:5], s[4:5]
; %bb.46:                               ;   in Loop: Header=BB16_3 Depth=1
	v_or_b32_e32 v7, 0x10000, v19
	v_cmp_eq_u32_sdwa vcc, v19, v18 src0_sel:WORD_0 src1_sel:DWORD
	v_cndmask_b32_e32 v7, v7, v19, vcc
; %bb.47:                               ;   in Loop: Header=BB16_3 Depth=1
	s_or_b64 exec, exec, s[4:5]
	v_and_b32_e32 v3, 0xffff0000, v3
	v_max_f32_e32 v3, v3, v3
	v_min_f32_e32 v3, v3, v15
	v_max_f32_e32 v3, v3, v16
	v_and_b32_e32 v19, 0x7f800000, v3
	v_cmp_ne_u32_e32 vcc, s9, v19
                                        ; implicit-def: $vgpr19
	s_and_saveexec_b64 s[4:5], vcc
	s_xor_b64 s[4:5], exec, s[4:5]
; %bb.48:                               ;   in Loop: Header=BB16_3 Depth=1
	v_bfe_u32 v19, v3, 16, 1
	v_add3_u32 v19, v3, v19, s10
                                        ; implicit-def: $vgpr3
; %bb.49:                               ;   in Loop: Header=BB16_3 Depth=1
	s_andn2_saveexec_b64 s[4:5], s[4:5]
; %bb.50:                               ;   in Loop: Header=BB16_3 Depth=1
	v_or_b32_e32 v19, 0x10000, v3
	v_cmp_eq_u32_sdwa vcc, v3, v18 src0_sel:WORD_0 src1_sel:DWORD
	v_cndmask_b32_e32 v19, v19, v3, vcc
; %bb.51:                               ;   in Loop: Header=BB16_3 Depth=1
	s_or_b64 exec, exec, s[4:5]
	v_and_b32_e32 v3, 0xffff0000, v21
	v_mul_f32_e32 v21, 0xbfb8aa3b, v3
	v_fma_f32 v22, v3, s11, -v21
	v_rndne_f32_e32 v23, v21
	v_fmac_f32_e32 v22, 0xb2a5705f, v3
	v_sub_f32_e32 v21, v21, v23
	v_add_f32_e32 v21, v21, v22
	v_cvt_i32_f32_e32 v22, v23
	v_exp_f32_e32 v21, v21
	v_cmp_nlt_f32_e32 vcc, s12, v3
	v_ldexp_f32 v21, v21, v22
	v_cndmask_b32_e32 v21, 0, v21, vcc
	v_cmp_ngt_f32_e32 vcc, s13, v3
	v_cndmask_b32_e32 v21, v17, v21, vcc
	v_add_f32_e32 v21, 1.0, v21
	v_div_scale_f32 v22, s[4:5], v21, v21, v3
	v_rcp_f32_e32 v23, v22
	v_fma_f32 v24, -v22, v23, 1.0
	v_fmac_f32_e32 v23, v24, v23
	v_div_scale_f32 v24, vcc, v3, v21, v3
	v_mul_f32_e32 v25, v24, v23
	v_fma_f32 v26, -v22, v25, v24
	v_fmac_f32_e32 v25, v26, v23
	v_fma_f32 v22, -v22, v25, v24
	v_div_fmas_f32 v22, v22, v23, v25
	v_div_fixup_f32 v21, v22, v21, v3
	v_and_b32_e32 v3, 0x7f800000, v21
	v_cmp_ne_u32_e32 vcc, s9, v3
                                        ; implicit-def: $vgpr3
	s_and_saveexec_b64 s[4:5], vcc
	s_xor_b64 s[4:5], exec, s[4:5]
; %bb.52:                               ;   in Loop: Header=BB16_3 Depth=1
	v_bfe_u32 v3, v21, 16, 1
	v_add3_u32 v3, v21, v3, s10
                                        ; implicit-def: $vgpr21
; %bb.53:                               ;   in Loop: Header=BB16_3 Depth=1
	s_andn2_saveexec_b64 s[4:5], s[4:5]
; %bb.54:                               ;   in Loop: Header=BB16_3 Depth=1
	v_or_b32_e32 v3, 0x10000, v21
	v_cmp_eq_u32_sdwa vcc, v21, v18 src0_sel:WORD_0 src1_sel:DWORD
	v_cndmask_b32_e32 v3, v3, v21, vcc
; %bb.55:                               ;   in Loop: Header=BB16_3 Depth=1
	s_or_b64 exec, exec, s[4:5]
	v_and_b32_e32 v20, 0xffff0000, v20
	v_mul_f32_e32 v21, 0xbfb8aa3b, v20
	v_fma_f32 v22, v20, s11, -v21
	v_rndne_f32_e32 v23, v21
	v_fmac_f32_e32 v22, 0xb2a5705f, v20
	v_sub_f32_e32 v21, v21, v23
	v_add_f32_e32 v21, v21, v22
	v_cvt_i32_f32_e32 v22, v23
	v_exp_f32_e32 v21, v21
	v_cmp_nlt_f32_e32 vcc, s12, v20
	v_ldexp_f32 v21, v21, v22
	v_cndmask_b32_e32 v21, 0, v21, vcc
	v_cmp_ngt_f32_e32 vcc, s13, v20
	v_cndmask_b32_e32 v21, v17, v21, vcc
	v_add_f32_e32 v21, 1.0, v21
	v_div_scale_f32 v22, s[4:5], v21, v21, v20
	v_rcp_f32_e32 v23, v22
	v_fma_f32 v24, -v22, v23, 1.0
	v_fmac_f32_e32 v23, v24, v23
	v_div_scale_f32 v24, vcc, v20, v21, v20
	v_mul_f32_e32 v25, v24, v23
	v_fma_f32 v26, -v22, v25, v24
	v_fmac_f32_e32 v25, v26, v23
	v_fma_f32 v22, -v22, v25, v24
	v_div_fmas_f32 v22, v22, v23, v25
	v_div_fixup_f32 v21, v22, v21, v20
	v_and_b32_e32 v20, 0x7f800000, v21
	v_cmp_ne_u32_e32 vcc, s9, v20
                                        ; implicit-def: $vgpr20
	s_and_saveexec_b64 s[4:5], vcc
	s_xor_b64 s[4:5], exec, s[4:5]
; %bb.56:                               ;   in Loop: Header=BB16_3 Depth=1
	v_bfe_u32 v20, v21, 16, 1
	v_add3_u32 v20, v21, v20, s10
                                        ; implicit-def: $vgpr21
; %bb.57:                               ;   in Loop: Header=BB16_3 Depth=1
	s_andn2_saveexec_b64 s[4:5], s[4:5]
; %bb.58:                               ;   in Loop: Header=BB16_3 Depth=1
	v_or_b32_e32 v20, 0x10000, v21
	v_cmp_eq_u32_sdwa vcc, v21, v18 src0_sel:WORD_0 src1_sel:DWORD
	v_cndmask_b32_e32 v20, v20, v21, vcc
; %bb.59:                               ;   in Loop: Header=BB16_3 Depth=1
	s_or_b64 exec, exec, s[4:5]
	v_and_b32_e32 v7, 0xffff0000, v7
	v_and_b32_e32 v3, 0xffff0000, v3
	v_mul_f32_e32 v7, v7, v3
	v_and_b32_e32 v3, 0x7f800000, v7
	v_cmp_ne_u32_e32 vcc, s9, v3
                                        ; implicit-def: $vgpr3
	s_and_saveexec_b64 s[4:5], vcc
	s_xor_b64 s[4:5], exec, s[4:5]
; %bb.60:                               ;   in Loop: Header=BB16_3 Depth=1
	v_bfe_u32 v3, v7, 16, 1
	v_add3_u32 v3, v7, v3, s10
                                        ; implicit-def: $vgpr7
; %bb.61:                               ;   in Loop: Header=BB16_3 Depth=1
	s_andn2_saveexec_b64 s[4:5], s[4:5]
; %bb.62:                               ;   in Loop: Header=BB16_3 Depth=1
	v_or_b32_e32 v3, 0x10000, v7
	v_cmp_eq_u32_sdwa vcc, v7, v18 src0_sel:WORD_0 src1_sel:DWORD
	v_cndmask_b32_e32 v3, v3, v7, vcc
; %bb.63:                               ;   in Loop: Header=BB16_3 Depth=1
	s_or_b64 exec, exec, s[4:5]
	v_and_b32_e32 v7, 0xffff0000, v20
	v_and_b32_e32 v19, 0xffff0000, v19
	v_mul_f32_e32 v19, v19, v7
	v_and_b32_e32 v7, 0x7f800000, v19
	v_cmp_ne_u32_e32 vcc, s9, v7
                                        ; implicit-def: $vgpr7
	s_and_saveexec_b64 s[4:5], vcc
	s_xor_b64 s[4:5], exec, s[4:5]
; %bb.64:                               ;   in Loop: Header=BB16_3 Depth=1
	v_bfe_u32 v7, v19, 16, 1
	v_add3_u32 v7, v19, v7, s10
                                        ; implicit-def: $vgpr19
; %bb.65:                               ;   in Loop: Header=BB16_3 Depth=1
	s_andn2_saveexec_b64 s[4:5], s[4:5]
; %bb.66:                               ;   in Loop: Header=BB16_3 Depth=1
	v_or_b32_e32 v7, 0x10000, v19
	v_cmp_eq_u32_sdwa vcc, v19, v18 src0_sel:WORD_0 src1_sel:DWORD
	v_cndmask_b32_e32 v7, v7, v19, vcc
; %bb.67:                               ;   in Loop: Header=BB16_3 Depth=1
	s_or_b64 exec, exec, s[4:5]
	v_lshlrev_b32_e32 v19, 16, v8
	v_max_f32_e32 v19, v19, v19
	v_min_f32_e32 v19, v19, v15
	v_and_b32_e32 v20, 0x7f800000, v19
	v_cmp_ne_u32_e32 vcc, s9, v20
                                        ; implicit-def: $vgpr21
	s_and_saveexec_b64 s[4:5], vcc
	s_xor_b64 s[4:5], exec, s[4:5]
; %bb.68:                               ;   in Loop: Header=BB16_3 Depth=1
	v_bfe_u32 v20, v19, 16, 1
	v_add3_u32 v21, v19, v20, s10
                                        ; implicit-def: $vgpr19
; %bb.69:                               ;   in Loop: Header=BB16_3 Depth=1
	s_andn2_saveexec_b64 s[4:5], s[4:5]
; %bb.70:                               ;   in Loop: Header=BB16_3 Depth=1
	v_or_b32_e32 v20, 0x10000, v19
	v_cmp_eq_u32_sdwa vcc, v19, v18 src0_sel:WORD_0 src1_sel:DWORD
	v_cndmask_b32_e32 v21, v20, v19, vcc
; %bb.71:                               ;   in Loop: Header=BB16_3 Depth=1
	s_or_b64 exec, exec, s[4:5]
	v_and_b32_e32 v8, 0xffff0000, v8
	v_max_f32_e32 v8, v8, v8
	v_min_f32_e32 v8, v8, v15
	v_and_b32_e32 v19, 0x7f800000, v8
	v_cmp_ne_u32_e32 vcc, s9, v19
                                        ; implicit-def: $vgpr20
	s_and_saveexec_b64 s[4:5], vcc
	s_xor_b64 s[4:5], exec, s[4:5]
; %bb.72:                               ;   in Loop: Header=BB16_3 Depth=1
	v_bfe_u32 v19, v8, 16, 1
	v_add3_u32 v20, v8, v19, s10
                                        ; implicit-def: $vgpr8
; %bb.73:                               ;   in Loop: Header=BB16_3 Depth=1
	s_andn2_saveexec_b64 s[4:5], s[4:5]
; %bb.74:                               ;   in Loop: Header=BB16_3 Depth=1
	v_or_b32_e32 v19, 0x10000, v8
	v_cmp_eq_u32_sdwa vcc, v8, v18 src0_sel:WORD_0 src1_sel:DWORD
	v_cndmask_b32_e32 v20, v19, v8, vcc
; %bb.75:                               ;   in Loop: Header=BB16_3 Depth=1
	s_or_b64 exec, exec, s[4:5]
	v_lshlrev_b32_e32 v8, 16, v4
	v_max_f32_e32 v8, v8, v8
	v_min_f32_e32 v8, v8, v15
	v_max_f32_e32 v19, v8, v16
	v_and_b32_e32 v8, 0x7f800000, v19
	v_cmp_ne_u32_e32 vcc, s9, v8
                                        ; implicit-def: $vgpr8
	s_and_saveexec_b64 s[4:5], vcc
	s_xor_b64 s[4:5], exec, s[4:5]
; %bb.76:                               ;   in Loop: Header=BB16_3 Depth=1
	v_bfe_u32 v8, v19, 16, 1
	v_add3_u32 v8, v19, v8, s10
                                        ; implicit-def: $vgpr19
; %bb.77:                               ;   in Loop: Header=BB16_3 Depth=1
	s_andn2_saveexec_b64 s[4:5], s[4:5]
; %bb.78:                               ;   in Loop: Header=BB16_3 Depth=1
	v_or_b32_e32 v8, 0x10000, v19
	v_cmp_eq_u32_sdwa vcc, v19, v18 src0_sel:WORD_0 src1_sel:DWORD
	v_cndmask_b32_e32 v8, v8, v19, vcc
; %bb.79:                               ;   in Loop: Header=BB16_3 Depth=1
	s_or_b64 exec, exec, s[4:5]
	v_and_b32_e32 v4, 0xffff0000, v4
	v_max_f32_e32 v4, v4, v4
	v_min_f32_e32 v4, v4, v15
	v_max_f32_e32 v4, v4, v16
	v_and_b32_e32 v19, 0x7f800000, v4
	v_cmp_ne_u32_e32 vcc, s9, v19
                                        ; implicit-def: $vgpr19
	s_and_saveexec_b64 s[4:5], vcc
	s_xor_b64 s[4:5], exec, s[4:5]
; %bb.80:                               ;   in Loop: Header=BB16_3 Depth=1
	v_bfe_u32 v19, v4, 16, 1
	v_add3_u32 v19, v4, v19, s10
                                        ; implicit-def: $vgpr4
; %bb.81:                               ;   in Loop: Header=BB16_3 Depth=1
	s_andn2_saveexec_b64 s[4:5], s[4:5]
; %bb.82:                               ;   in Loop: Header=BB16_3 Depth=1
	v_or_b32_e32 v19, 0x10000, v4
	v_cmp_eq_u32_sdwa vcc, v4, v18 src0_sel:WORD_0 src1_sel:DWORD
	v_cndmask_b32_e32 v19, v19, v4, vcc
; %bb.83:                               ;   in Loop: Header=BB16_3 Depth=1
	s_or_b64 exec, exec, s[4:5]
	v_and_b32_e32 v4, 0xffff0000, v21
	v_mul_f32_e32 v21, 0xbfb8aa3b, v4
	v_fma_f32 v22, v4, s11, -v21
	v_rndne_f32_e32 v23, v21
	v_fmac_f32_e32 v22, 0xb2a5705f, v4
	v_sub_f32_e32 v21, v21, v23
	v_add_f32_e32 v21, v21, v22
	v_cvt_i32_f32_e32 v22, v23
	v_exp_f32_e32 v21, v21
	v_cmp_nlt_f32_e32 vcc, s12, v4
	v_ldexp_f32 v21, v21, v22
	v_cndmask_b32_e32 v21, 0, v21, vcc
	v_cmp_ngt_f32_e32 vcc, s13, v4
	v_cndmask_b32_e32 v21, v17, v21, vcc
	v_add_f32_e32 v21, 1.0, v21
	v_div_scale_f32 v22, s[4:5], v21, v21, v4
	v_rcp_f32_e32 v23, v22
	v_fma_f32 v24, -v22, v23, 1.0
	v_fmac_f32_e32 v23, v24, v23
	v_div_scale_f32 v24, vcc, v4, v21, v4
	v_mul_f32_e32 v25, v24, v23
	v_fma_f32 v26, -v22, v25, v24
	v_fmac_f32_e32 v25, v26, v23
	v_fma_f32 v22, -v22, v25, v24
	v_div_fmas_f32 v22, v22, v23, v25
	v_div_fixup_f32 v21, v22, v21, v4
	v_and_b32_e32 v4, 0x7f800000, v21
	v_cmp_ne_u32_e32 vcc, s9, v4
                                        ; implicit-def: $vgpr4
	s_and_saveexec_b64 s[4:5], vcc
	s_xor_b64 s[4:5], exec, s[4:5]
; %bb.84:                               ;   in Loop: Header=BB16_3 Depth=1
	v_bfe_u32 v4, v21, 16, 1
	v_add3_u32 v4, v21, v4, s10
                                        ; implicit-def: $vgpr21
; %bb.85:                               ;   in Loop: Header=BB16_3 Depth=1
	s_andn2_saveexec_b64 s[4:5], s[4:5]
; %bb.86:                               ;   in Loop: Header=BB16_3 Depth=1
	v_or_b32_e32 v4, 0x10000, v21
	v_cmp_eq_u32_sdwa vcc, v21, v18 src0_sel:WORD_0 src1_sel:DWORD
	v_cndmask_b32_e32 v4, v4, v21, vcc
; %bb.87:                               ;   in Loop: Header=BB16_3 Depth=1
	s_or_b64 exec, exec, s[4:5]
	v_and_b32_e32 v20, 0xffff0000, v20
	v_mul_f32_e32 v21, 0xbfb8aa3b, v20
	v_fma_f32 v22, v20, s11, -v21
	v_rndne_f32_e32 v23, v21
	v_fmac_f32_e32 v22, 0xb2a5705f, v20
	v_sub_f32_e32 v21, v21, v23
	v_add_f32_e32 v21, v21, v22
	v_cvt_i32_f32_e32 v22, v23
	v_exp_f32_e32 v21, v21
	v_cmp_nlt_f32_e32 vcc, s12, v20
	v_ldexp_f32 v21, v21, v22
	v_cndmask_b32_e32 v21, 0, v21, vcc
	v_cmp_ngt_f32_e32 vcc, s13, v20
	v_cndmask_b32_e32 v21, v17, v21, vcc
	v_add_f32_e32 v21, 1.0, v21
	v_div_scale_f32 v22, s[4:5], v21, v21, v20
	v_rcp_f32_e32 v23, v22
	v_fma_f32 v24, -v22, v23, 1.0
	v_fmac_f32_e32 v23, v24, v23
	v_div_scale_f32 v24, vcc, v20, v21, v20
	v_mul_f32_e32 v25, v24, v23
	v_fma_f32 v26, -v22, v25, v24
	v_fmac_f32_e32 v25, v26, v23
	v_fma_f32 v22, -v22, v25, v24
	v_div_fmas_f32 v22, v22, v23, v25
	v_div_fixup_f32 v21, v22, v21, v20
	v_and_b32_e32 v20, 0x7f800000, v21
	v_cmp_ne_u32_e32 vcc, s9, v20
                                        ; implicit-def: $vgpr20
	s_and_saveexec_b64 s[4:5], vcc
	s_xor_b64 s[4:5], exec, s[4:5]
; %bb.88:                               ;   in Loop: Header=BB16_3 Depth=1
	v_bfe_u32 v20, v21, 16, 1
	v_add3_u32 v20, v21, v20, s10
                                        ; implicit-def: $vgpr21
; %bb.89:                               ;   in Loop: Header=BB16_3 Depth=1
	s_andn2_saveexec_b64 s[4:5], s[4:5]
; %bb.90:                               ;   in Loop: Header=BB16_3 Depth=1
	v_or_b32_e32 v20, 0x10000, v21
	v_cmp_eq_u32_sdwa vcc, v21, v18 src0_sel:WORD_0 src1_sel:DWORD
	v_cndmask_b32_e32 v20, v20, v21, vcc
; %bb.91:                               ;   in Loop: Header=BB16_3 Depth=1
	s_or_b64 exec, exec, s[4:5]
	v_and_b32_e32 v8, 0xffff0000, v8
	v_and_b32_e32 v4, 0xffff0000, v4
	v_mul_f32_e32 v8, v8, v4
	v_and_b32_e32 v4, 0x7f800000, v8
	v_cmp_ne_u32_e32 vcc, s9, v4
                                        ; implicit-def: $vgpr4
	s_and_saveexec_b64 s[4:5], vcc
	s_xor_b64 s[4:5], exec, s[4:5]
; %bb.92:                               ;   in Loop: Header=BB16_3 Depth=1
	v_bfe_u32 v4, v8, 16, 1
	v_add3_u32 v4, v8, v4, s10
                                        ; implicit-def: $vgpr8
; %bb.93:                               ;   in Loop: Header=BB16_3 Depth=1
	s_andn2_saveexec_b64 s[4:5], s[4:5]
; %bb.94:                               ;   in Loop: Header=BB16_3 Depth=1
	v_or_b32_e32 v4, 0x10000, v8
	v_cmp_eq_u32_sdwa vcc, v8, v18 src0_sel:WORD_0 src1_sel:DWORD
	v_cndmask_b32_e32 v4, v4, v8, vcc
; %bb.95:                               ;   in Loop: Header=BB16_3 Depth=1
	s_or_b64 exec, exec, s[4:5]
	v_and_b32_e32 v8, 0xffff0000, v20
	v_and_b32_e32 v19, 0xffff0000, v19
	v_mul_f32_e32 v19, v19, v8
	v_and_b32_e32 v8, 0x7f800000, v19
	v_cmp_ne_u32_e32 vcc, s9, v8
                                        ; implicit-def: $vgpr8
	s_and_saveexec_b64 s[4:5], vcc
	s_xor_b64 s[4:5], exec, s[4:5]
; %bb.96:                               ;   in Loop: Header=BB16_3 Depth=1
	v_bfe_u32 v8, v19, 16, 1
	v_add3_u32 v8, v19, v8, s10
                                        ; implicit-def: $vgpr19
; %bb.97:                               ;   in Loop: Header=BB16_3 Depth=1
	s_andn2_saveexec_b64 s[4:5], s[4:5]
; %bb.98:                               ;   in Loop: Header=BB16_3 Depth=1
	v_or_b32_e32 v8, 0x10000, v19
	v_cmp_eq_u32_sdwa vcc, v19, v18 src0_sel:WORD_0 src1_sel:DWORD
	v_cndmask_b32_e32 v8, v8, v19, vcc
; %bb.99:                               ;   in Loop: Header=BB16_3 Depth=1
	s_or_b64 exec, exec, s[4:5]
	v_lshlrev_b32_e32 v19, 16, v9
	v_max_f32_e32 v19, v19, v19
	v_min_f32_e32 v19, v19, v15
	v_and_b32_e32 v20, 0x7f800000, v19
	v_cmp_ne_u32_e32 vcc, s9, v20
                                        ; implicit-def: $vgpr20
	s_and_saveexec_b64 s[4:5], vcc
	s_xor_b64 s[4:5], exec, s[4:5]
; %bb.100:                              ;   in Loop: Header=BB16_3 Depth=1
	v_bfe_u32 v20, v19, 16, 1
	v_add3_u32 v20, v19, v20, s10
                                        ; implicit-def: $vgpr19
; %bb.101:                              ;   in Loop: Header=BB16_3 Depth=1
	s_andn2_saveexec_b64 s[4:5], s[4:5]
; %bb.102:                              ;   in Loop: Header=BB16_3 Depth=1
	v_or_b32_e32 v20, 0x10000, v19
	v_cmp_eq_u32_sdwa vcc, v19, v18 src0_sel:WORD_0 src1_sel:DWORD
	v_cndmask_b32_e32 v20, v20, v19, vcc
; %bb.103:                              ;   in Loop: Header=BB16_3 Depth=1
	s_or_b64 exec, exec, s[4:5]
	v_and_b32_e32 v9, 0xffff0000, v9
	v_max_f32_e32 v9, v9, v9
	v_min_f32_e32 v9, v9, v15
	v_and_b32_e32 v19, 0x7f800000, v9
	v_cmp_ne_u32_e32 vcc, s9, v19
                                        ; implicit-def: $vgpr19
	s_and_saveexec_b64 s[4:5], vcc
	s_xor_b64 s[4:5], exec, s[4:5]
; %bb.104:                              ;   in Loop: Header=BB16_3 Depth=1
	v_bfe_u32 v19, v9, 16, 1
	v_add3_u32 v19, v9, v19, s10
                                        ; implicit-def: $vgpr9
; %bb.105:                              ;   in Loop: Header=BB16_3 Depth=1
	s_andn2_saveexec_b64 s[4:5], s[4:5]
; %bb.106:                              ;   in Loop: Header=BB16_3 Depth=1
	v_or_b32_e32 v19, 0x10000, v9
	v_cmp_eq_u32_sdwa vcc, v9, v18 src0_sel:WORD_0 src1_sel:DWORD
	v_cndmask_b32_e32 v19, v19, v9, vcc
; %bb.107:                              ;   in Loop: Header=BB16_3 Depth=1
	s_or_b64 exec, exec, s[4:5]
	v_lshlrev_b32_e32 v9, 16, v5
	v_max_f32_e32 v9, v9, v9
	v_min_f32_e32 v9, v9, v15
	v_max_f32_e32 v21, v9, v16
	v_and_b32_e32 v9, 0x7f800000, v21
	v_cmp_ne_u32_e32 vcc, s9, v9
                                        ; implicit-def: $vgpr9
	s_and_saveexec_b64 s[4:5], vcc
	s_xor_b64 s[4:5], exec, s[4:5]
; %bb.108:                              ;   in Loop: Header=BB16_3 Depth=1
	v_bfe_u32 v9, v21, 16, 1
	v_add3_u32 v9, v21, v9, s10
                                        ; implicit-def: $vgpr21
; %bb.109:                              ;   in Loop: Header=BB16_3 Depth=1
	s_andn2_saveexec_b64 s[4:5], s[4:5]
; %bb.110:                              ;   in Loop: Header=BB16_3 Depth=1
	v_or_b32_e32 v9, 0x10000, v21
	v_cmp_eq_u32_sdwa vcc, v21, v18 src0_sel:WORD_0 src1_sel:DWORD
	v_cndmask_b32_e32 v9, v9, v21, vcc
; %bb.111:                              ;   in Loop: Header=BB16_3 Depth=1
	s_or_b64 exec, exec, s[4:5]
	v_and_b32_e32 v5, 0xffff0000, v5
	v_max_f32_e32 v5, v5, v5
	v_min_f32_e32 v5, v5, v15
	v_max_f32_e32 v21, v5, v16
	v_and_b32_e32 v5, 0x7f800000, v21
	v_cmp_ne_u32_e32 vcc, s9, v5
                                        ; implicit-def: $vgpr5
	s_and_saveexec_b64 s[4:5], vcc
	s_xor_b64 s[4:5], exec, s[4:5]
; %bb.112:                              ;   in Loop: Header=BB16_3 Depth=1
	v_bfe_u32 v5, v21, 16, 1
	v_add3_u32 v5, v21, v5, s10
                                        ; implicit-def: $vgpr21
; %bb.113:                              ;   in Loop: Header=BB16_3 Depth=1
	s_andn2_saveexec_b64 s[4:5], s[4:5]
; %bb.114:                              ;   in Loop: Header=BB16_3 Depth=1
	v_or_b32_e32 v5, 0x10000, v21
	v_cmp_eq_u32_sdwa vcc, v21, v18 src0_sel:WORD_0 src1_sel:DWORD
	v_cndmask_b32_e32 v5, v5, v21, vcc
; %bb.115:                              ;   in Loop: Header=BB16_3 Depth=1
	s_or_b64 exec, exec, s[4:5]
	v_and_b32_e32 v20, 0xffff0000, v20
	v_mul_f32_e32 v21, 0xbfb8aa3b, v20
	v_fma_f32 v22, v20, s11, -v21
	v_rndne_f32_e32 v23, v21
	v_fmac_f32_e32 v22, 0xb2a5705f, v20
	v_sub_f32_e32 v21, v21, v23
	v_add_f32_e32 v21, v21, v22
	v_cvt_i32_f32_e32 v22, v23
	v_exp_f32_e32 v21, v21
	v_cmp_nlt_f32_e32 vcc, s12, v20
	v_ldexp_f32 v21, v21, v22
	v_cndmask_b32_e32 v21, 0, v21, vcc
	v_cmp_ngt_f32_e32 vcc, s13, v20
	v_cndmask_b32_e32 v21, v17, v21, vcc
	v_add_f32_e32 v21, 1.0, v21
	v_div_scale_f32 v22, s[4:5], v21, v21, v20
	v_rcp_f32_e32 v23, v22
	v_fma_f32 v24, -v22, v23, 1.0
	v_fmac_f32_e32 v23, v24, v23
	v_div_scale_f32 v24, vcc, v20, v21, v20
	v_mul_f32_e32 v25, v24, v23
	v_fma_f32 v26, -v22, v25, v24
	v_fmac_f32_e32 v25, v26, v23
	v_fma_f32 v22, -v22, v25, v24
	v_div_fmas_f32 v22, v22, v23, v25
	v_div_fixup_f32 v21, v22, v21, v20
	v_and_b32_e32 v20, 0x7f800000, v21
	v_cmp_ne_u32_e32 vcc, s9, v20
                                        ; implicit-def: $vgpr20
	s_and_saveexec_b64 s[4:5], vcc
	s_xor_b64 s[4:5], exec, s[4:5]
; %bb.116:                              ;   in Loop: Header=BB16_3 Depth=1
	v_bfe_u32 v20, v21, 16, 1
	v_add3_u32 v20, v21, v20, s10
                                        ; implicit-def: $vgpr21
; %bb.117:                              ;   in Loop: Header=BB16_3 Depth=1
	s_andn2_saveexec_b64 s[4:5], s[4:5]
; %bb.118:                              ;   in Loop: Header=BB16_3 Depth=1
	v_or_b32_e32 v20, 0x10000, v21
	v_cmp_eq_u32_sdwa vcc, v21, v18 src0_sel:WORD_0 src1_sel:DWORD
	v_cndmask_b32_e32 v20, v20, v21, vcc
; %bb.119:                              ;   in Loop: Header=BB16_3 Depth=1
	s_or_b64 exec, exec, s[4:5]
	v_and_b32_e32 v19, 0xffff0000, v19
	v_mul_f32_e32 v21, 0xbfb8aa3b, v19
	v_fma_f32 v22, v19, s11, -v21
	v_rndne_f32_e32 v23, v21
	v_fmac_f32_e32 v22, 0xb2a5705f, v19
	v_sub_f32_e32 v21, v21, v23
	v_add_f32_e32 v21, v21, v22
	v_cvt_i32_f32_e32 v22, v23
	v_exp_f32_e32 v21, v21
	v_cmp_nlt_f32_e32 vcc, s12, v19
	v_ldexp_f32 v21, v21, v22
	v_cndmask_b32_e32 v21, 0, v21, vcc
	v_cmp_ngt_f32_e32 vcc, s13, v19
	v_cndmask_b32_e32 v21, v17, v21, vcc
	v_add_f32_e32 v21, 1.0, v21
	v_div_scale_f32 v22, s[4:5], v21, v21, v19
	v_rcp_f32_e32 v23, v22
	v_fma_f32 v24, -v22, v23, 1.0
	v_fmac_f32_e32 v23, v24, v23
	v_div_scale_f32 v24, vcc, v19, v21, v19
	v_mul_f32_e32 v25, v24, v23
	v_fma_f32 v26, -v22, v25, v24
	v_fmac_f32_e32 v25, v26, v23
	v_fma_f32 v22, -v22, v25, v24
	v_div_fmas_f32 v22, v22, v23, v25
	v_div_fixup_f32 v21, v22, v21, v19
	v_and_b32_e32 v19, 0x7f800000, v21
	v_cmp_ne_u32_e32 vcc, s9, v19
                                        ; implicit-def: $vgpr19
	s_and_saveexec_b64 s[4:5], vcc
	s_xor_b64 s[4:5], exec, s[4:5]
; %bb.120:                              ;   in Loop: Header=BB16_3 Depth=1
	v_bfe_u32 v19, v21, 16, 1
	v_add3_u32 v19, v21, v19, s10
                                        ; implicit-def: $vgpr21
; %bb.121:                              ;   in Loop: Header=BB16_3 Depth=1
	s_andn2_saveexec_b64 s[4:5], s[4:5]
; %bb.122:                              ;   in Loop: Header=BB16_3 Depth=1
	v_or_b32_e32 v19, 0x10000, v21
	v_cmp_eq_u32_sdwa vcc, v21, v18 src0_sel:WORD_0 src1_sel:DWORD
	v_cndmask_b32_e32 v19, v19, v21, vcc
; %bb.123:                              ;   in Loop: Header=BB16_3 Depth=1
	s_or_b64 exec, exec, s[4:5]
	v_and_b32_e32 v9, 0xffff0000, v9
	v_and_b32_e32 v20, 0xffff0000, v20
	v_mul_f32_e32 v20, v9, v20
	v_and_b32_e32 v9, 0x7f800000, v20
	v_cmp_ne_u32_e32 vcc, s9, v9
                                        ; implicit-def: $vgpr9
	s_and_saveexec_b64 s[4:5], vcc
	s_xor_b64 s[4:5], exec, s[4:5]
; %bb.124:                              ;   in Loop: Header=BB16_3 Depth=1
	v_bfe_u32 v9, v20, 16, 1
	v_add3_u32 v9, v20, v9, s10
                                        ; implicit-def: $vgpr20
; %bb.125:                              ;   in Loop: Header=BB16_3 Depth=1
	s_andn2_saveexec_b64 s[4:5], s[4:5]
; %bb.126:                              ;   in Loop: Header=BB16_3 Depth=1
	v_or_b32_e32 v9, 0x10000, v20
	v_cmp_eq_u32_sdwa vcc, v20, v18 src0_sel:WORD_0 src1_sel:DWORD
	v_cndmask_b32_e32 v9, v9, v20, vcc
; %bb.127:                              ;   in Loop: Header=BB16_3 Depth=1
	s_or_b64 exec, exec, s[4:5]
	v_and_b32_e32 v19, 0xffff0000, v19
	v_and_b32_e32 v5, 0xffff0000, v5
	v_mul_f32_e32 v5, v5, v19
	v_and_b32_e32 v19, 0x7f800000, v5
	v_cmp_ne_u32_e32 vcc, s9, v19
                                        ; implicit-def: $vgpr19
	s_and_saveexec_b64 s[4:5], vcc
	s_xor_b64 s[4:5], exec, s[4:5]
; %bb.128:                              ;   in Loop: Header=BB16_3 Depth=1
	v_bfe_u32 v19, v5, 16, 1
	v_add3_u32 v19, v5, v19, s10
                                        ; implicit-def: $vgpr5
; %bb.129:                              ;   in Loop: Header=BB16_3 Depth=1
	s_andn2_saveexec_b64 s[4:5], s[4:5]
	s_cbranch_execz .LBB16_2
; %bb.130:                              ;   in Loop: Header=BB16_3 Depth=1
	v_or_b32_e32 v19, 0x10000, v5
	v_cmp_eq_u32_sdwa vcc, v5, v18 src0_sel:WORD_0 src1_sel:DWORD
	v_cndmask_b32_e32 v19, v19, v5, vcc
	s_branch .LBB16_2
.LBB16_131:
	s_endpgm
	.section	.rodata,"a",@progbits
	.p2align	6, 0x0
	.amdhsa_kernel _ZN4vllm18act_and_mul_kernelIN3c108BFloat16E15__hip_bfloat162TnPFT_RKS4_EXadL_ZNS_11silu_kernelIS2_EES4_S6_EETnPFT0_RKSA_EXadL_ZNS_18packed_silu_kernelIS3_EES4_S6_EELb1ELb1ELb1ELb0EEEvPS4_PS5_if
		.amdhsa_group_segment_fixed_size 0
		.amdhsa_private_segment_fixed_size 0
		.amdhsa_kernarg_size 280
		.amdhsa_user_sgpr_count 6
		.amdhsa_user_sgpr_private_segment_buffer 1
		.amdhsa_user_sgpr_dispatch_ptr 0
		.amdhsa_user_sgpr_queue_ptr 0
		.amdhsa_user_sgpr_kernarg_segment_ptr 1
		.amdhsa_user_sgpr_dispatch_id 0
		.amdhsa_user_sgpr_flat_scratch_init 0
		.amdhsa_user_sgpr_kernarg_preload_length 0
		.amdhsa_user_sgpr_kernarg_preload_offset 0
		.amdhsa_user_sgpr_private_segment_size 0
		.amdhsa_uses_dynamic_stack 0
		.amdhsa_system_sgpr_private_segment_wavefront_offset 0
		.amdhsa_system_sgpr_workgroup_id_x 1
		.amdhsa_system_sgpr_workgroup_id_y 0
		.amdhsa_system_sgpr_workgroup_id_z 0
		.amdhsa_system_sgpr_workgroup_info 0
		.amdhsa_system_vgpr_workitem_id 0
		.amdhsa_next_free_vgpr 27
		.amdhsa_next_free_sgpr 16
		.amdhsa_accum_offset 28
		.amdhsa_reserve_vcc 1
		.amdhsa_reserve_flat_scratch 0
		.amdhsa_float_round_mode_32 0
		.amdhsa_float_round_mode_16_64 0
		.amdhsa_float_denorm_mode_32 3
		.amdhsa_float_denorm_mode_16_64 3
		.amdhsa_dx10_clamp 1
		.amdhsa_ieee_mode 1
		.amdhsa_fp16_overflow 0
		.amdhsa_tg_split 0
		.amdhsa_exception_fp_ieee_invalid_op 0
		.amdhsa_exception_fp_denorm_src 0
		.amdhsa_exception_fp_ieee_div_zero 0
		.amdhsa_exception_fp_ieee_overflow 0
		.amdhsa_exception_fp_ieee_underflow 0
		.amdhsa_exception_fp_ieee_inexact 0
		.amdhsa_exception_int_div_zero 0
	.end_amdhsa_kernel
	.section	.text._ZN4vllm18act_and_mul_kernelIN3c108BFloat16E15__hip_bfloat162TnPFT_RKS4_EXadL_ZNS_11silu_kernelIS2_EES4_S6_EETnPFT0_RKSA_EXadL_ZNS_18packed_silu_kernelIS3_EES4_S6_EELb1ELb1ELb1ELb0EEEvPS4_PS5_if,"axG",@progbits,_ZN4vllm18act_and_mul_kernelIN3c108BFloat16E15__hip_bfloat162TnPFT_RKS4_EXadL_ZNS_11silu_kernelIS2_EES4_S6_EETnPFT0_RKSA_EXadL_ZNS_18packed_silu_kernelIS3_EES4_S6_EELb1ELb1ELb1ELb0EEEvPS4_PS5_if,comdat
.Lfunc_end16:
	.size	_ZN4vllm18act_and_mul_kernelIN3c108BFloat16E15__hip_bfloat162TnPFT_RKS4_EXadL_ZNS_11silu_kernelIS2_EES4_S6_EETnPFT0_RKSA_EXadL_ZNS_18packed_silu_kernelIS3_EES4_S6_EELb1ELb1ELb1ELb0EEEvPS4_PS5_if, .Lfunc_end16-_ZN4vllm18act_and_mul_kernelIN3c108BFloat16E15__hip_bfloat162TnPFT_RKS4_EXadL_ZNS_11silu_kernelIS2_EES4_S6_EETnPFT0_RKSA_EXadL_ZNS_18packed_silu_kernelIS3_EES4_S6_EELb1ELb1ELb1ELb0EEEvPS4_PS5_if
                                        ; -- End function
	.section	.AMDGPU.csdata,"",@progbits
; Kernel info:
; codeLenInByte = 4060
; NumSgprs: 20
; NumVgprs: 27
; NumAgprs: 0
; TotalNumVgprs: 27
; ScratchSize: 0
; MemoryBound: 0
; FloatMode: 240
; IeeeMode: 1
; LDSByteSize: 0 bytes/workgroup (compile time only)
; SGPRBlocks: 2
; VGPRBlocks: 3
; NumSGPRsForWavesPerEU: 20
; NumVGPRsForWavesPerEU: 27
; AccumOffset: 28
; Occupancy: 8
; WaveLimiterHint : 0
; COMPUTE_PGM_RSRC2:SCRATCH_EN: 0
; COMPUTE_PGM_RSRC2:USER_SGPR: 6
; COMPUTE_PGM_RSRC2:TRAP_HANDLER: 0
; COMPUTE_PGM_RSRC2:TGID_X_EN: 1
; COMPUTE_PGM_RSRC2:TGID_Y_EN: 0
; COMPUTE_PGM_RSRC2:TGID_Z_EN: 0
; COMPUTE_PGM_RSRC2:TIDIG_COMP_CNT: 0
; COMPUTE_PGM_RSRC3_GFX90A:ACCUM_OFFSET: 6
; COMPUTE_PGM_RSRC3_GFX90A:TG_SPLIT: 0
	.section	.text._ZN4vllm18act_and_mul_kernelIf15HIP_vector_typeIfLj2EETnPFT_RKS3_EXadL_ZNS_11silu_kernelIfEES3_S5_EETnPFT0_RKS9_EXadL_ZNS_18packed_silu_kernelIS2_EES3_S5_EELb1ELb0ELb1ELb0EEEvPS3_PS4_if,"axG",@progbits,_ZN4vllm18act_and_mul_kernelIf15HIP_vector_typeIfLj2EETnPFT_RKS3_EXadL_ZNS_11silu_kernelIfEES3_S5_EETnPFT0_RKS9_EXadL_ZNS_18packed_silu_kernelIS2_EES3_S5_EELb1ELb0ELb1ELb0EEEvPS3_PS4_if,comdat
	.protected	_ZN4vllm18act_and_mul_kernelIf15HIP_vector_typeIfLj2EETnPFT_RKS3_EXadL_ZNS_11silu_kernelIfEES3_S5_EETnPFT0_RKS9_EXadL_ZNS_18packed_silu_kernelIS2_EES3_S5_EELb1ELb0ELb1ELb0EEEvPS3_PS4_if ; -- Begin function _ZN4vllm18act_and_mul_kernelIf15HIP_vector_typeIfLj2EETnPFT_RKS3_EXadL_ZNS_11silu_kernelIfEES3_S5_EETnPFT0_RKS9_EXadL_ZNS_18packed_silu_kernelIS2_EES3_S5_EELb1ELb0ELb1ELb0EEEvPS3_PS4_if
	.globl	_ZN4vllm18act_and_mul_kernelIf15HIP_vector_typeIfLj2EETnPFT_RKS3_EXadL_ZNS_11silu_kernelIfEES3_S5_EETnPFT0_RKS9_EXadL_ZNS_18packed_silu_kernelIS2_EES3_S5_EELb1ELb0ELb1ELb0EEEvPS3_PS4_if
	.p2align	8
	.type	_ZN4vllm18act_and_mul_kernelIf15HIP_vector_typeIfLj2EETnPFT_RKS3_EXadL_ZNS_11silu_kernelIfEES3_S5_EETnPFT0_RKS9_EXadL_ZNS_18packed_silu_kernelIS2_EES3_S5_EELb1ELb0ELb1ELb0EEEvPS3_PS4_if,@function
_ZN4vllm18act_and_mul_kernelIf15HIP_vector_typeIfLj2EETnPFT_RKS3_EXadL_ZNS_11silu_kernelIfEES3_S5_EETnPFT0_RKS9_EXadL_ZNS_18packed_silu_kernelIS2_EES3_S5_EELb1ELb0ELb1ELb0EEEvPS3_PS4_if: ; @_ZN4vllm18act_and_mul_kernelIf15HIP_vector_typeIfLj2EETnPFT_RKS3_EXadL_ZNS_11silu_kernelIfEES3_S5_EETnPFT0_RKS9_EXadL_ZNS_18packed_silu_kernelIS2_EES3_S5_EELb1ELb0ELb1ELb0EEEvPS3_PS4_if
; %bb.0:
	s_load_dwordx2 s[12:13], s[4:5], 0x10
	s_waitcnt lgkmcnt(0)
	v_cmp_gt_i32_e32 vcc, s12, v0
	s_and_saveexec_b64 s[0:1], vcc
	s_cbranch_execz .LBB17_12
; %bb.1:
	s_load_dword s0, s[4:5], 0x24
	s_ashr_i32 s3, s12, 31
	s_mov_b32 s2, s12
	v_mov_b32_e32 v2, s3
	v_mov_b32_e32 v1, 0
	s_waitcnt lgkmcnt(0)
	s_and_b32 s20, s0, 0xffff
	v_add_co_u32_e32 v4, vcc, s20, v0
	v_addc_co_u32_e64 v5, s[0:1], 0, 0, vcc
	v_cmp_lt_i64_e32 vcc, s[2:3], v[4:5]
	v_cndmask_b32_e32 v6, v2, v5, vcc
	v_mov_b32_e32 v2, s12
	v_cndmask_b32_e32 v3, v2, v4, vcc
	v_cmp_gt_i64_e32 vcc, s[2:3], v[4:5]
	v_cndmask_b32_e64 v2, 0, 1, vcc
	v_add_co_u32_e32 v4, vcc, v4, v2
	v_addc_co_u32_e32 v5, vcc, 0, v5, vcc
	v_sub_co_u32_e32 v3, vcc, v3, v4
	v_subb_co_u32_e32 v5, vcc, v6, v5, vcc
	v_mov_b32_e32 v4, v1
	s_mov_b32 s21, 0
	v_cmp_ne_u64_e32 vcc, 0, v[4:5]
                                        ; implicit-def: $vgpr6_vgpr7
	s_and_saveexec_b64 s[0:1], vcc
	s_xor_b64 s[8:9], exec, s[0:1]
	s_cbranch_execz .LBB17_3
; %bb.2:
	v_cvt_f32_u32_e32 v4, s20
	v_mov_b32_e32 v6, 0x4f800000
	s_sub_u32 s0, 0, s20
	s_subb_u32 s1, 0, 0
	v_mac_f32_e32 v4, 0, v6
	v_rcp_f32_e32 v4, v4
	v_mul_f32_e32 v4, 0x5f7ffffc, v4
	v_mul_f32_e32 v6, 0x2f800000, v4
	v_trunc_f32_e32 v6, v6
	v_madmk_f32 v4, v6, 0xcf800000, v4
	v_cvt_u32_f32_e32 v6, v6
	v_cvt_u32_f32_e32 v4, v4
	v_mul_lo_u32 v7, s0, v6
	v_mul_hi_u32 v9, s0, v4
	v_mul_lo_u32 v8, s1, v4
	v_add_u32_e32 v7, v9, v7
	v_mul_lo_u32 v10, s0, v4
	v_add_u32_e32 v7, v7, v8
	v_mul_hi_u32 v9, v4, v10
	v_mul_lo_u32 v11, v4, v7
	v_mul_hi_u32 v8, v4, v7
	v_add_co_u32_e32 v9, vcc, v9, v11
	v_addc_co_u32_e32 v8, vcc, 0, v8, vcc
	v_mul_hi_u32 v12, v6, v10
	v_mul_lo_u32 v10, v6, v10
	v_add_co_u32_e32 v9, vcc, v9, v10
	v_mul_hi_u32 v11, v6, v7
	v_addc_co_u32_e32 v8, vcc, v8, v12, vcc
	v_addc_co_u32_e32 v9, vcc, 0, v11, vcc
	v_mul_lo_u32 v7, v6, v7
	v_add_co_u32_e32 v7, vcc, v8, v7
	v_addc_co_u32_e32 v8, vcc, 0, v9, vcc
	v_add_co_u32_e32 v4, vcc, v4, v7
	v_addc_co_u32_e32 v6, vcc, v6, v8, vcc
	v_mul_lo_u32 v7, s0, v6
	v_mul_hi_u32 v8, s0, v4
	v_add_u32_e32 v7, v8, v7
	v_mul_lo_u32 v8, s1, v4
	v_add_u32_e32 v7, v7, v8
	v_mul_lo_u32 v9, s0, v4
	v_mul_hi_u32 v10, v6, v9
	v_mul_lo_u32 v11, v6, v9
	v_mul_lo_u32 v13, v4, v7
	v_mul_hi_u32 v9, v4, v9
	v_mul_hi_u32 v12, v4, v7
	v_add_co_u32_e32 v9, vcc, v9, v13
	v_addc_co_u32_e32 v12, vcc, 0, v12, vcc
	v_add_co_u32_e32 v9, vcc, v9, v11
	v_mul_hi_u32 v8, v6, v7
	v_addc_co_u32_e32 v9, vcc, v12, v10, vcc
	v_addc_co_u32_e32 v8, vcc, 0, v8, vcc
	v_mul_lo_u32 v7, v6, v7
	v_add_co_u32_e32 v7, vcc, v9, v7
	v_addc_co_u32_e32 v8, vcc, 0, v8, vcc
	v_add_co_u32_e32 v4, vcc, v4, v7
	v_addc_co_u32_e32 v8, vcc, v6, v8, vcc
	v_mad_u64_u32 v[6:7], s[0:1], v3, v8, 0
	v_mul_hi_u32 v9, v3, v4
	v_add_co_u32_e32 v10, vcc, v9, v6
	v_addc_co_u32_e32 v11, vcc, 0, v7, vcc
	v_mad_u64_u32 v[6:7], s[0:1], v5, v8, 0
	v_mad_u64_u32 v[8:9], s[0:1], v5, v4, 0
	v_add_co_u32_e32 v4, vcc, v10, v8
	v_addc_co_u32_e32 v4, vcc, v11, v9, vcc
	v_addc_co_u32_e32 v7, vcc, 0, v7, vcc
	v_add_co_u32_e32 v10, vcc, v4, v6
	v_addc_co_u32_e32 v11, vcc, 0, v7, vcc
	v_mad_u64_u32 v[6:7], s[0:1], s20, v10, 0
	v_mov_b32_e32 v4, v7
	v_mad_u64_u32 v[8:9], s[0:1], s20, v11, v[4:5]
	v_sub_co_u32_e32 v3, vcc, v3, v6
	v_subb_co_u32_e32 v4, vcc, v5, v8, vcc
	v_subrev_co_u32_e32 v5, vcc, s20, v3
	v_subbrev_co_u32_e32 v6, vcc, 0, v4, vcc
	v_cmp_le_u32_e32 vcc, s20, v5
	v_cndmask_b32_e64 v5, 0, -1, vcc
	v_cmp_eq_u32_e32 vcc, 0, v6
	v_cndmask_b32_e32 v5, -1, v5, vcc
	v_add_co_u32_e32 v6, vcc, 2, v10
	v_addc_co_u32_e32 v7, vcc, 0, v11, vcc
	v_add_co_u32_e32 v8, vcc, 1, v10
	v_cmp_le_u32_e64 s[0:1], s20, v3
	v_addc_co_u32_e32 v9, vcc, 0, v11, vcc
	v_cndmask_b32_e64 v3, 0, -1, s[0:1]
	v_cmp_eq_u32_e64 s[0:1], 0, v4
	v_cmp_ne_u32_e32 vcc, 0, v5
	v_cndmask_b32_e64 v3, -1, v3, s[0:1]
	v_cndmask_b32_e32 v5, v9, v7, vcc
	v_cmp_ne_u32_e64 s[0:1], 0, v3
	v_cndmask_b32_e32 v3, v8, v6, vcc
	v_cndmask_b32_e64 v7, v11, v5, s[0:1]
	v_cndmask_b32_e64 v6, v10, v3, s[0:1]
                                        ; implicit-def: $vgpr3
.LBB17_3:
	s_or_saveexec_b64 s[0:1], s[8:9]
	s_load_dwordx4 s[8:11], s[4:5], 0x0
	s_xor_b64 exec, exec, s[0:1]
	s_cbranch_execz .LBB17_5
; %bb.4:
	v_cvt_f32_u32_e32 v4, s20
	s_sub_i32 s4, 0, s20
	v_mov_b32_e32 v7, 0
	v_rcp_iflag_f32_e32 v4, v4
	v_mul_f32_e32 v4, 0x4f7ffffe, v4
	v_cvt_u32_f32_e32 v4, v4
	v_mul_lo_u32 v5, s4, v4
	v_mul_hi_u32 v5, v4, v5
	v_add_u32_e32 v4, v4, v5
	v_mul_hi_u32 v4, v3, v4
	v_mul_lo_u32 v5, v4, s20
	v_sub_u32_e32 v3, v3, v5
	v_add_u32_e32 v6, 1, v4
	v_subrev_u32_e32 v5, s20, v3
	v_cmp_le_u32_e32 vcc, s20, v3
	v_cndmask_b32_e32 v3, v3, v5, vcc
	v_cndmask_b32_e32 v4, v4, v6, vcc
	v_add_u32_e32 v5, 1, v4
	v_cmp_le_u32_e32 vcc, s20, v3
	v_cndmask_b32_e32 v6, v4, v5, vcc
.LBB17_5:
	s_or_b64 exec, exec, s[0:1]
	v_add_co_u32_e32 v2, vcc, v6, v2
	v_addc_co_u32_e32 v3, vcc, 0, v7, vcc
	v_add_co_u32_e32 v2, vcc, 1, v2
	v_addc_co_u32_e32 v3, vcc, 0, v3, vcc
	s_mul_i32 s4, s6, s12
	s_mov_b32 s7, 0
	v_cmp_lt_u64_e32 vcc, 1, v[2:3]
	v_cmp_eq_u16_e64 s[0:1], s20, 1
	s_lshl_b32 s6, s4, 1
	s_mov_b32 s5, s7
	s_and_b64 s[16:17], vcc, s[0:1]
	s_mov_b64 s[0:1], -1
	s_and_saveexec_b64 s[14:15], s[16:17]
	s_cbranch_execz .LBB17_9
; %bb.6:
	s_xor_b32 s19, s13, 0x80000000
	s_lshl_b64 s[0:1], s[6:7], 2
	s_waitcnt lgkmcnt(0)
	s_add_u32 s0, s10, s0
	v_lshlrev_b32_e32 v6, 2, v0
	s_addc_u32 s1, s11, s1
	v_mov_b32_e32 v7, s1
	v_add_co_u32_e32 v8, vcc, s0, v6
	v_addc_co_u32_e32 v9, vcc, 0, v7, vcc
	s_lshl_b64 s[0:1], s[2:3], 2
	s_lshl_b32 s12, s20, 3
	v_mov_b32_e32 v7, s1
	v_add_co_u32_e32 v10, vcc, s0, v8
	s_lshl_b64 s[0:1], s[4:5], 2
	s_add_u32 s0, s8, s0
	v_addc_co_u32_e32 v11, vcc, v9, v7, vcc
	s_addc_u32 s1, s9, s1
	v_and_b32_e32 v4, -2, v2
	v_mov_b32_e32 v5, v3
	s_mov_b32 s18, s13
	s_mov_b32 s22, s19
	v_mov_b32_e32 v7, s1
	v_add_co_u32_e32 v12, vcc, s0, v6
	v_addc_co_u32_e32 v13, vcc, 0, v7, vcc
	s_mov_b64 s[16:17], 0
	v_max_f32_e64 v14, s18, s18
	v_max_f32_e64 v15, s13, s13
	;; [unrolled: 1-line block ×4, first 2 shown]
	s_mov_b32 s22, 0xbfb8aa3b
	s_mov_b32 s23, 0x42ce8ed0
	;; [unrolled: 1-line block ×3, first 2 shown]
	v_mov_b32_e32 v18, 0x7f800000
	s_mov_b64 s[18:19], 0
	v_pk_mov_b32 v[6:7], v[4:5], v[4:5] op_sel:[0,1]
.LBB17_7:                               ; =>This Inner Loop Header: Depth=1
	v_mov_b32_e32 v19, s19
	v_add_co_u32_e64 v22, s[0:1], s18, v8
	v_add_co_u32_e32 v20, vcc, s18, v10
	v_addc_co_u32_e64 v23, s[0:1], v9, v19, s[0:1]
	v_addc_co_u32_e32 v21, vcc, v11, v19, vcc
	global_load_dwordx2 v[24:25], v[22:23], off
	global_load_dwordx2 v[26:27], v[20:21], off
	v_add_co_u32_e32 v6, vcc, -2, v6
	v_addc_co_u32_e32 v7, vcc, -1, v7, vcc
	v_add_co_u32_e32 v20, vcc, s18, v12
	v_addc_co_u32_e32 v21, vcc, v13, v19, vcc
	s_add_u32 s18, s18, s12
	s_addc_u32 s19, s19, 0
	v_cmp_eq_u64_e32 vcc, 0, v[6:7]
	s_or_b64 s[16:17], vcc, s[16:17]
	s_waitcnt vmcnt(1)
	v_max_f32_e32 v19, v24, v24
	v_max_f32_e32 v22, v25, v25
	s_waitcnt vmcnt(0)
	v_max_f32_e32 v23, v26, v26
	v_max_f32_e32 v24, v27, v27
	v_min_f32_e32 v19, v19, v14
	v_min_f32_e32 v26, v22, v15
	;; [unrolled: 1-line block ×4, first 2 shown]
	v_mul_f32_e32 v24, 0xbfb8aa3b, v26
	v_mul_f32_e32 v25, 0xbfb8aa3b, v19
	v_fma_f32 v27, v26, s22, -v24
	v_rndne_f32_e32 v28, v24
	v_fma_f32 v29, v19, s22, -v25
	v_rndne_f32_e32 v30, v25
	v_fmac_f32_e32 v27, 0xb2a5705f, v26
	v_sub_f32_e32 v24, v24, v28
	v_fmac_f32_e32 v29, 0xb2a5705f, v19
	v_sub_f32_e32 v25, v25, v30
	v_add_f32_e32 v24, v24, v27
	v_add_f32_e32 v25, v25, v29
	v_cvt_i32_f32_e32 v28, v28
	v_cvt_i32_f32_e32 v30, v30
	v_exp_f32_e32 v24, v24
	v_exp_f32_e32 v25, v25
	v_cmp_nlt_f32_e32 vcc, s23, v19
	v_cmp_nlt_f32_e64 s[0:1], s23, v26
	v_ldexp_f32 v24, v24, v28
	v_ldexp_f32 v25, v25, v30
	v_cndmask_b32_e64 v24, 0, v24, s[0:1]
	v_cndmask_b32_e32 v27, 0, v25, vcc
	v_cmp_ngt_f32_e32 vcc, s24, v19
	v_cmp_ngt_f32_e64 s[0:1], s24, v26
	v_cndmask_b32_e64 v25, v18, v24, s[0:1]
	v_cndmask_b32_e32 v24, v18, v27, vcc
	v_pk_add_f32 v[24:25], v[24:25], 1.0 op_sel_hi:[1,0]
	v_div_scale_f32 v27, s[0:1], v25, v25, v26
	v_div_scale_f32 v29, s[0:1], v24, v24, v19
	v_rcp_f32_e32 v31, v27
	v_rcp_f32_e32 v32, v29
	v_div_scale_f32 v28, vcc, v26, v25, v26
	v_fma_f32 v33, -v27, v31, 1.0
	v_fma_f32 v34, -v29, v32, 1.0
	v_fmac_f32_e32 v31, v33, v31
	v_div_scale_f32 v30, s[0:1], v19, v24, v19
	v_fmac_f32_e32 v32, v34, v32
	v_mul_f32_e32 v33, v28, v31
	v_mul_f32_e32 v34, v30, v32
	v_fma_f32 v35, -v27, v33, v28
	v_fma_f32 v36, -v29, v34, v30
	v_fmac_f32_e32 v33, v35, v31
	v_fmac_f32_e32 v34, v36, v32
	v_fma_f32 v27, -v27, v33, v28
	v_fma_f32 v28, -v29, v34, v30
	v_div_fmas_f32 v27, v27, v31, v33
	s_mov_b64 vcc, s[0:1]
	v_div_fixup_f32 v25, v27, v25, v26
	v_div_fmas_f32 v26, v28, v32, v34
	v_max_f32_e32 v23, v23, v16
	v_max_f32_e32 v22, v22, v17
	v_div_fixup_f32 v24, v26, v24, v19
	v_pk_mul_f32 v[22:23], v[22:23], v[24:25]
	global_store_dwordx2 v[20:21], v[22:23], off
	s_andn2_b64 exec, exec, s[16:17]
	s_cbranch_execnz .LBB17_7
; %bb.8:
	s_or_b64 exec, exec, s[16:17]
	v_mad_u64_u32 v[0:1], s[0:1], v4, s20, v[0:1]
	v_mov_b32_e32 v6, v1
	v_mad_u64_u32 v[6:7], s[0:1], v5, s20, v[6:7]
	v_cmp_ne_u64_e32 vcc, v[2:3], v[4:5]
	v_mov_b32_e32 v1, v6
	s_orn2_b64 s[0:1], vcc, exec
.LBB17_9:
	s_or_b64 exec, exec, s[14:15]
	s_and_b64 exec, exec, s[0:1]
	s_cbranch_execz .LBB17_12
; %bb.10:
	s_lshl_b64 s[0:1], s[6:7], 2
	s_waitcnt lgkmcnt(0)
	s_add_u32 s6, s10, s0
	s_addc_u32 s10, s11, s1
	s_lshl_b64 s[0:1], s[2:3], 2
	s_add_u32 s7, s6, s0
	s_addc_u32 s11, s10, s1
	s_lshl_b64 s[0:1], s[4:5], 2
	s_add_u32 s4, s8, s0
	s_addc_u32 s12, s9, s1
	s_mov_b32 s14, 0
	v_lshlrev_b64 v[2:3], 2, v[0:1]
	s_lshl_b32 s5, s20, 2
	s_mov_b64 s[0:1], 0
	v_mov_b32_e32 v4, s10
	v_mov_b32_e32 v5, s11
	v_max_f32_e64 v6, s13, s13
	v_max_f32_e64 v7, -s13, -s13
	s_mov_b32 s8, 0xbfb8aa3b
	s_mov_b32 s9, 0x42ce8ed0
	;; [unrolled: 1-line block ×3, first 2 shown]
	v_mov_b32_e32 v8, 0x7f800000
	v_mov_b32_e32 v9, s12
	;; [unrolled: 1-line block ×4, first 2 shown]
.LBB17_11:                              ; =>This Inner Loop Header: Depth=1
	v_add_co_u32_e32 v12, vcc, s6, v2
	v_addc_co_u32_e32 v13, vcc, v4, v3, vcc
	v_add_co_u32_e32 v14, vcc, s7, v2
	v_addc_co_u32_e32 v15, vcc, v5, v3, vcc
	global_load_dword v16, v[12:13], off
	global_load_dword v17, v[14:15], off
	v_add_co_u32_e32 v12, vcc, s4, v2
	v_addc_co_u32_e32 v13, vcc, v9, v3, vcc
	v_add_co_u32_e32 v0, vcc, s20, v0
	v_addc_co_u32_e32 v1, vcc, v1, v10, vcc
	;; [unrolled: 2-line block ×3, first 2 shown]
	v_cmp_le_i64_e32 vcc, s[2:3], v[0:1]
	s_or_b64 s[0:1], vcc, s[0:1]
	s_waitcnt vmcnt(1)
	v_max_f32_e32 v14, v16, v16
	v_min_f32_e32 v14, v14, v6
	v_mul_f32_e32 v16, 0xbfb8aa3b, v14
	s_waitcnt vmcnt(0)
	v_max_f32_e32 v15, v17, v17
	v_fma_f32 v17, v14, s8, -v16
	v_rndne_f32_e32 v18, v16
	v_fmac_f32_e32 v17, 0xb2a5705f, v14
	v_sub_f32_e32 v16, v16, v18
	v_add_f32_e32 v16, v16, v17
	v_cvt_i32_f32_e32 v18, v18
	v_exp_f32_e32 v16, v16
	v_cmp_nlt_f32_e32 vcc, s9, v14
	v_min_f32_e32 v15, v15, v6
	v_max_f32_e32 v15, v15, v7
	v_ldexp_f32 v16, v16, v18
	v_cndmask_b32_e32 v16, 0, v16, vcc
	v_cmp_ngt_f32_e32 vcc, s10, v14
	v_cndmask_b32_e32 v16, v8, v16, vcc
	v_add_f32_e32 v16, 1.0, v16
	v_div_scale_f32 v17, s[12:13], v16, v16, v14
	v_rcp_f32_e32 v18, v17
	v_div_scale_f32 v19, vcc, v14, v16, v14
	v_fma_f32 v20, -v17, v18, 1.0
	v_fmac_f32_e32 v18, v20, v18
	v_mul_f32_e32 v20, v19, v18
	v_fma_f32 v21, -v17, v20, v19
	v_fmac_f32_e32 v20, v21, v18
	v_fma_f32 v17, -v17, v20, v19
	v_div_fmas_f32 v17, v17, v18, v20
	v_div_fixup_f32 v14, v17, v16, v14
	v_mul_f32_e32 v14, v15, v14
	global_store_dword v[12:13], v14, off
	s_andn2_b64 exec, exec, s[0:1]
	s_cbranch_execnz .LBB17_11
.LBB17_12:
	s_endpgm
	.section	.rodata,"a",@progbits
	.p2align	6, 0x0
	.amdhsa_kernel _ZN4vllm18act_and_mul_kernelIf15HIP_vector_typeIfLj2EETnPFT_RKS3_EXadL_ZNS_11silu_kernelIfEES3_S5_EETnPFT0_RKS9_EXadL_ZNS_18packed_silu_kernelIS2_EES3_S5_EELb1ELb0ELb1ELb0EEEvPS3_PS4_if
		.amdhsa_group_segment_fixed_size 0
		.amdhsa_private_segment_fixed_size 0
		.amdhsa_kernarg_size 280
		.amdhsa_user_sgpr_count 6
		.amdhsa_user_sgpr_private_segment_buffer 1
		.amdhsa_user_sgpr_dispatch_ptr 0
		.amdhsa_user_sgpr_queue_ptr 0
		.amdhsa_user_sgpr_kernarg_segment_ptr 1
		.amdhsa_user_sgpr_dispatch_id 0
		.amdhsa_user_sgpr_flat_scratch_init 0
		.amdhsa_user_sgpr_kernarg_preload_length 0
		.amdhsa_user_sgpr_kernarg_preload_offset 0
		.amdhsa_user_sgpr_private_segment_size 0
		.amdhsa_uses_dynamic_stack 0
		.amdhsa_system_sgpr_private_segment_wavefront_offset 0
		.amdhsa_system_sgpr_workgroup_id_x 1
		.amdhsa_system_sgpr_workgroup_id_y 0
		.amdhsa_system_sgpr_workgroup_id_z 0
		.amdhsa_system_sgpr_workgroup_info 0
		.amdhsa_system_vgpr_workitem_id 0
		.amdhsa_next_free_vgpr 37
		.amdhsa_next_free_sgpr 25
		.amdhsa_accum_offset 40
		.amdhsa_reserve_vcc 1
		.amdhsa_reserve_flat_scratch 0
		.amdhsa_float_round_mode_32 0
		.amdhsa_float_round_mode_16_64 0
		.amdhsa_float_denorm_mode_32 3
		.amdhsa_float_denorm_mode_16_64 3
		.amdhsa_dx10_clamp 1
		.amdhsa_ieee_mode 1
		.amdhsa_fp16_overflow 0
		.amdhsa_tg_split 0
		.amdhsa_exception_fp_ieee_invalid_op 0
		.amdhsa_exception_fp_denorm_src 0
		.amdhsa_exception_fp_ieee_div_zero 0
		.amdhsa_exception_fp_ieee_overflow 0
		.amdhsa_exception_fp_ieee_underflow 0
		.amdhsa_exception_fp_ieee_inexact 0
		.amdhsa_exception_int_div_zero 0
	.end_amdhsa_kernel
	.section	.text._ZN4vllm18act_and_mul_kernelIf15HIP_vector_typeIfLj2EETnPFT_RKS3_EXadL_ZNS_11silu_kernelIfEES3_S5_EETnPFT0_RKS9_EXadL_ZNS_18packed_silu_kernelIS2_EES3_S5_EELb1ELb0ELb1ELb0EEEvPS3_PS4_if,"axG",@progbits,_ZN4vllm18act_and_mul_kernelIf15HIP_vector_typeIfLj2EETnPFT_RKS3_EXadL_ZNS_11silu_kernelIfEES3_S5_EETnPFT0_RKS9_EXadL_ZNS_18packed_silu_kernelIS2_EES3_S5_EELb1ELb0ELb1ELb0EEEvPS3_PS4_if,comdat
.Lfunc_end17:
	.size	_ZN4vllm18act_and_mul_kernelIf15HIP_vector_typeIfLj2EETnPFT_RKS3_EXadL_ZNS_11silu_kernelIfEES3_S5_EETnPFT0_RKS9_EXadL_ZNS_18packed_silu_kernelIS2_EES3_S5_EELb1ELb0ELb1ELb0EEEvPS3_PS4_if, .Lfunc_end17-_ZN4vllm18act_and_mul_kernelIf15HIP_vector_typeIfLj2EETnPFT_RKS3_EXadL_ZNS_11silu_kernelIfEES3_S5_EETnPFT0_RKS9_EXadL_ZNS_18packed_silu_kernelIS2_EES3_S5_EELb1ELb0ELb1ELb0EEEvPS3_PS4_if
                                        ; -- End function
	.section	.AMDGPU.csdata,"",@progbits
; Kernel info:
; codeLenInByte = 1928
; NumSgprs: 29
; NumVgprs: 37
; NumAgprs: 0
; TotalNumVgprs: 37
; ScratchSize: 0
; MemoryBound: 0
; FloatMode: 240
; IeeeMode: 1
; LDSByteSize: 0 bytes/workgroup (compile time only)
; SGPRBlocks: 3
; VGPRBlocks: 4
; NumSGPRsForWavesPerEU: 29
; NumVGPRsForWavesPerEU: 37
; AccumOffset: 40
; Occupancy: 8
; WaveLimiterHint : 0
; COMPUTE_PGM_RSRC2:SCRATCH_EN: 0
; COMPUTE_PGM_RSRC2:USER_SGPR: 6
; COMPUTE_PGM_RSRC2:TRAP_HANDLER: 0
; COMPUTE_PGM_RSRC2:TGID_X_EN: 1
; COMPUTE_PGM_RSRC2:TGID_Y_EN: 0
; COMPUTE_PGM_RSRC2:TGID_Z_EN: 0
; COMPUTE_PGM_RSRC2:TIDIG_COMP_CNT: 0
; COMPUTE_PGM_RSRC3_GFX90A:ACCUM_OFFSET: 9
; COMPUTE_PGM_RSRC3_GFX90A:TG_SPLIT: 0
	.section	.text._ZN4vllm18act_and_mul_kernelIN3c104HalfE7__half2TnPFT_RKS4_EXadL_ZNS_11silu_kernelIS2_EES4_S6_EETnPFT0_RKSA_EXadL_ZNS_18packed_silu_kernelIS3_EES4_S6_EELb1ELb0ELb1ELb0EEEvPS4_PS5_if,"axG",@progbits,_ZN4vllm18act_and_mul_kernelIN3c104HalfE7__half2TnPFT_RKS4_EXadL_ZNS_11silu_kernelIS2_EES4_S6_EETnPFT0_RKSA_EXadL_ZNS_18packed_silu_kernelIS3_EES4_S6_EELb1ELb0ELb1ELb0EEEvPS4_PS5_if,comdat
	.protected	_ZN4vllm18act_and_mul_kernelIN3c104HalfE7__half2TnPFT_RKS4_EXadL_ZNS_11silu_kernelIS2_EES4_S6_EETnPFT0_RKSA_EXadL_ZNS_18packed_silu_kernelIS3_EES4_S6_EELb1ELb0ELb1ELb0EEEvPS4_PS5_if ; -- Begin function _ZN4vllm18act_and_mul_kernelIN3c104HalfE7__half2TnPFT_RKS4_EXadL_ZNS_11silu_kernelIS2_EES4_S6_EETnPFT0_RKSA_EXadL_ZNS_18packed_silu_kernelIS3_EES4_S6_EELb1ELb0ELb1ELb0EEEvPS4_PS5_if
	.globl	_ZN4vllm18act_and_mul_kernelIN3c104HalfE7__half2TnPFT_RKS4_EXadL_ZNS_11silu_kernelIS2_EES4_S6_EETnPFT0_RKSA_EXadL_ZNS_18packed_silu_kernelIS3_EES4_S6_EELb1ELb0ELb1ELb0EEEvPS4_PS5_if
	.p2align	8
	.type	_ZN4vllm18act_and_mul_kernelIN3c104HalfE7__half2TnPFT_RKS4_EXadL_ZNS_11silu_kernelIS2_EES4_S6_EETnPFT0_RKSA_EXadL_ZNS_18packed_silu_kernelIS3_EES4_S6_EELb1ELb0ELb1ELb0EEEvPS4_PS5_if,@function
_ZN4vllm18act_and_mul_kernelIN3c104HalfE7__half2TnPFT_RKS4_EXadL_ZNS_11silu_kernelIS2_EES4_S6_EETnPFT0_RKSA_EXadL_ZNS_18packed_silu_kernelIS3_EES4_S6_EELb1ELb0ELb1ELb0EEEvPS4_PS5_if: ; @_ZN4vllm18act_and_mul_kernelIN3c104HalfE7__half2TnPFT_RKS4_EXadL_ZNS_11silu_kernelIS2_EES4_S6_EETnPFT0_RKSA_EXadL_ZNS_18packed_silu_kernelIS3_EES4_S6_EELb1ELb0ELb1ELb0EEEvPS4_PS5_if
; %bb.0:
	s_load_dwordx2 s[14:15], s[4:5], 0x10
	s_waitcnt lgkmcnt(0)
	v_cmp_gt_i32_e32 vcc, s14, v0
	s_and_saveexec_b64 s[0:1], vcc
	s_cbranch_execz .LBB18_12
; %bb.1:
	s_load_dword s0, s[4:5], 0x24
	s_ashr_i32 s13, s14, 31
	s_mov_b32 s12, s14
	v_mov_b32_e32 v2, s13
	v_mov_b32_e32 v1, 0
	s_waitcnt lgkmcnt(0)
	s_and_b32 s24, s0, 0xffff
	v_add_co_u32_e32 v4, vcc, s24, v0
	v_addc_co_u32_e64 v5, s[0:1], 0, 0, vcc
	v_cmp_lt_i64_e32 vcc, s[12:13], v[4:5]
	v_cndmask_b32_e32 v6, v2, v5, vcc
	v_mov_b32_e32 v2, s14
	v_cndmask_b32_e32 v3, v2, v4, vcc
	v_cmp_gt_i64_e32 vcc, s[12:13], v[4:5]
	v_cndmask_b32_e64 v2, 0, 1, vcc
	v_add_co_u32_e32 v4, vcc, v4, v2
	v_addc_co_u32_e32 v5, vcc, 0, v5, vcc
	v_sub_co_u32_e32 v3, vcc, v3, v4
	v_subb_co_u32_e32 v5, vcc, v6, v5, vcc
	v_mov_b32_e32 v4, v1
	s_mov_b32 s25, 0
	v_cmp_ne_u64_e32 vcc, 0, v[4:5]
                                        ; implicit-def: $vgpr6_vgpr7
	s_and_saveexec_b64 s[0:1], vcc
	s_xor_b64 s[2:3], exec, s[0:1]
	s_cbranch_execz .LBB18_3
; %bb.2:
	v_cvt_f32_u32_e32 v4, s24
	v_mov_b32_e32 v6, 0x4f800000
	s_sub_u32 s0, 0, s24
	s_subb_u32 s1, 0, 0
	v_mac_f32_e32 v4, 0, v6
	v_rcp_f32_e32 v4, v4
	v_mul_f32_e32 v4, 0x5f7ffffc, v4
	v_mul_f32_e32 v6, 0x2f800000, v4
	v_trunc_f32_e32 v6, v6
	v_madmk_f32 v4, v6, 0xcf800000, v4
	v_cvt_u32_f32_e32 v6, v6
	v_cvt_u32_f32_e32 v4, v4
	v_mul_lo_u32 v7, s0, v6
	v_mul_hi_u32 v9, s0, v4
	v_mul_lo_u32 v8, s1, v4
	v_add_u32_e32 v7, v9, v7
	v_mul_lo_u32 v10, s0, v4
	v_add_u32_e32 v7, v7, v8
	v_mul_hi_u32 v9, v4, v10
	v_mul_lo_u32 v11, v4, v7
	v_mul_hi_u32 v8, v4, v7
	v_add_co_u32_e32 v9, vcc, v9, v11
	v_addc_co_u32_e32 v8, vcc, 0, v8, vcc
	v_mul_hi_u32 v12, v6, v10
	v_mul_lo_u32 v10, v6, v10
	v_add_co_u32_e32 v9, vcc, v9, v10
	v_mul_hi_u32 v11, v6, v7
	v_addc_co_u32_e32 v8, vcc, v8, v12, vcc
	v_addc_co_u32_e32 v9, vcc, 0, v11, vcc
	v_mul_lo_u32 v7, v6, v7
	v_add_co_u32_e32 v7, vcc, v8, v7
	v_addc_co_u32_e32 v8, vcc, 0, v9, vcc
	v_add_co_u32_e32 v4, vcc, v4, v7
	v_addc_co_u32_e32 v6, vcc, v6, v8, vcc
	v_mul_lo_u32 v7, s0, v6
	v_mul_hi_u32 v8, s0, v4
	v_add_u32_e32 v7, v8, v7
	v_mul_lo_u32 v8, s1, v4
	v_add_u32_e32 v7, v7, v8
	v_mul_lo_u32 v9, s0, v4
	v_mul_hi_u32 v10, v6, v9
	v_mul_lo_u32 v11, v6, v9
	v_mul_lo_u32 v13, v4, v7
	v_mul_hi_u32 v9, v4, v9
	v_mul_hi_u32 v12, v4, v7
	v_add_co_u32_e32 v9, vcc, v9, v13
	v_addc_co_u32_e32 v12, vcc, 0, v12, vcc
	v_add_co_u32_e32 v9, vcc, v9, v11
	v_mul_hi_u32 v8, v6, v7
	v_addc_co_u32_e32 v9, vcc, v12, v10, vcc
	v_addc_co_u32_e32 v8, vcc, 0, v8, vcc
	v_mul_lo_u32 v7, v6, v7
	v_add_co_u32_e32 v7, vcc, v9, v7
	v_addc_co_u32_e32 v8, vcc, 0, v8, vcc
	v_add_co_u32_e32 v4, vcc, v4, v7
	v_addc_co_u32_e32 v8, vcc, v6, v8, vcc
	v_mad_u64_u32 v[6:7], s[0:1], v3, v8, 0
	v_mul_hi_u32 v9, v3, v4
	v_add_co_u32_e32 v10, vcc, v9, v6
	v_addc_co_u32_e32 v11, vcc, 0, v7, vcc
	v_mad_u64_u32 v[6:7], s[0:1], v5, v8, 0
	v_mad_u64_u32 v[8:9], s[0:1], v5, v4, 0
	v_add_co_u32_e32 v4, vcc, v10, v8
	v_addc_co_u32_e32 v4, vcc, v11, v9, vcc
	v_addc_co_u32_e32 v7, vcc, 0, v7, vcc
	v_add_co_u32_e32 v10, vcc, v4, v6
	v_addc_co_u32_e32 v11, vcc, 0, v7, vcc
	v_mad_u64_u32 v[6:7], s[0:1], s24, v10, 0
	v_mov_b32_e32 v4, v7
	v_mad_u64_u32 v[8:9], s[0:1], s24, v11, v[4:5]
	v_sub_co_u32_e32 v3, vcc, v3, v6
	v_subb_co_u32_e32 v4, vcc, v5, v8, vcc
	v_subrev_co_u32_e32 v5, vcc, s24, v3
	v_subbrev_co_u32_e32 v6, vcc, 0, v4, vcc
	v_cmp_le_u32_e32 vcc, s24, v5
	v_cndmask_b32_e64 v5, 0, -1, vcc
	v_cmp_eq_u32_e32 vcc, 0, v6
	v_cndmask_b32_e32 v5, -1, v5, vcc
	v_add_co_u32_e32 v6, vcc, 2, v10
	v_addc_co_u32_e32 v7, vcc, 0, v11, vcc
	v_add_co_u32_e32 v8, vcc, 1, v10
	v_cmp_le_u32_e64 s[0:1], s24, v3
	v_addc_co_u32_e32 v9, vcc, 0, v11, vcc
	v_cndmask_b32_e64 v3, 0, -1, s[0:1]
	v_cmp_eq_u32_e64 s[0:1], 0, v4
	v_cmp_ne_u32_e32 vcc, 0, v5
	v_cndmask_b32_e64 v3, -1, v3, s[0:1]
	v_cndmask_b32_e32 v5, v9, v7, vcc
	v_cmp_ne_u32_e64 s[0:1], 0, v3
	v_cndmask_b32_e32 v3, v8, v6, vcc
	v_cndmask_b32_e64 v7, v11, v5, s[0:1]
	v_cndmask_b32_e64 v6, v10, v3, s[0:1]
                                        ; implicit-def: $vgpr3
.LBB18_3:
	s_or_saveexec_b64 s[0:1], s[2:3]
	s_load_dwordx4 s[8:11], s[4:5], 0x0
	s_xor_b64 exec, exec, s[0:1]
	s_cbranch_execz .LBB18_5
; %bb.4:
	v_cvt_f32_u32_e32 v4, s24
	s_sub_i32 s2, 0, s24
	v_mov_b32_e32 v7, 0
	v_rcp_iflag_f32_e32 v4, v4
	v_mul_f32_e32 v4, 0x4f7ffffe, v4
	v_cvt_u32_f32_e32 v4, v4
	v_mul_lo_u32 v5, s2, v4
	v_mul_hi_u32 v5, v4, v5
	v_add_u32_e32 v4, v4, v5
	v_mul_hi_u32 v4, v3, v4
	v_mul_lo_u32 v5, v4, s24
	v_sub_u32_e32 v3, v3, v5
	v_add_u32_e32 v6, 1, v4
	v_subrev_u32_e32 v5, s24, v3
	v_cmp_le_u32_e32 vcc, s24, v3
	v_cndmask_b32_e32 v3, v3, v5, vcc
	v_cndmask_b32_e32 v4, v4, v6, vcc
	v_add_u32_e32 v5, 1, v4
	v_cmp_le_u32_e32 vcc, s24, v3
	v_cndmask_b32_e32 v6, v4, v5, vcc
.LBB18_5:
	s_or_b64 exec, exec, s[0:1]
	v_add_co_u32_e32 v2, vcc, v6, v2
	v_addc_co_u32_e32 v3, vcc, 0, v7, vcc
	v_add_co_u32_e32 v2, vcc, 1, v2
	v_addc_co_u32_e32 v3, vcc, 0, v3, vcc
	s_mul_i32 s6, s6, s14
	s_mov_b32 s17, 0
	v_cmp_lt_u64_e32 vcc, 3, v[2:3]
	v_cmp_eq_u16_e64 s[0:1], s24, 1
	s_lshl_b32 s16, s6, 1
	s_mov_b32 s7, s17
	s_and_b64 s[2:3], vcc, s[0:1]
	s_mov_b64 s[0:1], -1
	s_and_saveexec_b64 s[18:19], s[2:3]
	s_cbranch_execz .LBB18_9
; %bb.6:
	s_xor_b32 s5, s15, 0x80000000
	s_lshl_b64 s[0:1], s[16:17], 1
	s_waitcnt lgkmcnt(0)
	s_add_u32 s0, s10, s0
	v_lshlrev_b32_e32 v6, 1, v0
	s_addc_u32 s1, s11, s1
	v_mov_b32_e32 v7, s1
	v_add_co_u32_e32 v12, vcc, s0, v6
	v_addc_co_u32_e32 v13, vcc, 0, v7, vcc
	s_lshl_b64 s[0:1], s[12:13], 1
	s_lshl_b32 s14, s24, 3
	v_mov_b32_e32 v7, s1
	v_add_co_u32_e32 v14, vcc, s0, v12
	s_lshl_b64 s[0:1], s[6:7], 1
	s_add_u32 s0, s8, s0
	v_addc_co_u32_e32 v15, vcc, v13, v7, vcc
	s_addc_u32 s1, s9, s1
	v_and_b32_e32 v4, -4, v2
	v_mov_b32_e32 v5, v3
	s_mov_b32 s2, s15
	s_mov_b32 s3, s15
	;; [unrolled: 1-line block ×6, first 2 shown]
	v_mov_b32_e32 v7, s1
	v_add_co_u32_e32 v16, vcc, s0, v6
	v_addc_co_u32_e32 v17, vcc, 0, v7, vcc
	s_mov_b64 s[20:21], 0
	v_max_f32_e64 v18, s15, s15
	v_max_f32_e64 v19, s2, s2
	;; [unrolled: 1-line block ×8, first 2 shown]
	s_mov_b32 s26, 0x3fb8aa3b
	s_mov_b32 s27, 0x32a5705f
	;; [unrolled: 1-line block ×4, first 2 shown]
	v_mov_b32_e32 v26, 0x7f800000
	s_mov_b64 s[22:23], 0
	v_pk_mov_b32 v[6:7], v[4:5], v[4:5] op_sel:[0,1]
.LBB18_7:                               ; =>This Inner Loop Header: Depth=1
	v_add_co_u32_e64 v6, s[2:3], -4, v6
	v_addc_co_u32_e64 v7, s[2:3], -1, v7, s[2:3]
	v_mov_b32_e32 v11, s23
	v_add_co_u32_e64 v28, s[2:3], s22, v12
	v_add_co_u32_e32 v8, vcc, s22, v14
	v_addc_co_u32_e64 v29, s[2:3], v13, v11, s[2:3]
	v_addc_co_u32_e32 v9, vcc, v15, v11, vcc
	global_load_dwordx2 v[30:31], v[28:29], off
	global_load_dwordx2 v[32:33], v[8:9], off
	v_add_co_u32_e64 v10, s[0:1], s22, v16
	s_add_u32 s22, s22, s14
	v_addc_co_u32_e64 v11, vcc, v17, v11, s[0:1]
	s_addc_u32 s23, s23, 0
	v_cmp_eq_u64_e32 vcc, 0, v[6:7]
	s_or_b64 s[20:21], vcc, s[20:21]
	s_waitcnt vmcnt(1)
	v_cvt_f32_f16_e32 v8, v31
	v_cvt_f32_f16_sdwa v9, v31 dst_sel:DWORD dst_unused:UNUSED_PAD src0_sel:WORD_1
	v_cvt_f32_f16_e32 v27, v30
	v_cvt_f32_f16_sdwa v28, v30 dst_sel:DWORD dst_unused:UNUSED_PAD src0_sel:WORD_1
	s_waitcnt vmcnt(0)
	v_cvt_f32_f16_sdwa v29, v33 dst_sel:DWORD dst_unused:UNUSED_PAD src0_sel:WORD_1
	v_cvt_f32_f16_e32 v30, v33
	v_min_f32_e32 v9, v9, v20
	v_min_f32_e32 v8, v8, v21
	v_cvt_f16_f32_e32 v8, v8
	v_cvt_f16_f32_e32 v9, v9
	v_min_f32_e32 v28, v28, v18
	v_min_f32_e32 v27, v27, v19
	v_min_f32_e32 v30, v30, v21
	v_min_f32_e32 v29, v29, v20
	v_cvt_f16_f32_e32 v27, v27
	v_cvt_f16_f32_e32 v28, v28
	v_max_f32_e32 v29, v29, v22
	v_max_f32_e32 v30, v30, v23
	v_cvt_f16_f32_e32 v30, v30
	v_cvt_f16_f32_e32 v29, v29
	v_cvt_f32_f16_e64 v38, -v8
	v_cvt_f32_f16_e64 v39, -v9
	;; [unrolled: 1-line block ×4, first 2 shown]
	v_pack_b32_f16 v30, v30, v29
	v_mul_f32_e32 v29, 0x3fb8aa3b, v38
	v_mul_f32_e32 v41, 0x3fb8aa3b, v39
	v_fma_mix_f32 v44, -v8, s26, -v29 op_sel_hi:[1,0,0]
	v_rndne_f32_e32 v45, v29
	v_fma_mix_f32 v46, -v9, s26, -v41 op_sel_hi:[1,0,0]
	v_rndne_f32_e32 v47, v41
	v_cvt_f32_f16_e32 v35, v9
	v_cvt_f32_f16_e32 v36, v8
	v_mul_f32_e32 v42, 0x3fb8aa3b, v40
	v_mul_f32_e32 v43, 0x3fb8aa3b, v37
	v_fma_mix_f32 v8, -v8, s27, v44 op_sel_hi:[1,0,0]
	v_sub_f32_e32 v29, v29, v45
	v_fma_mix_f32 v9, -v9, s27, v46 op_sel_hi:[1,0,0]
	v_sub_f32_e32 v41, v41, v47
	v_fma_mix_f32 v48, -v27, s26, -v42 op_sel_hi:[1,0,0]
	v_rndne_f32_e32 v49, v42
	v_fma_mix_f32 v50, -v28, s26, -v43 op_sel_hi:[1,0,0]
	v_rndne_f32_e32 v51, v43
	v_add_f32_e32 v8, v29, v8
	v_add_f32_e32 v9, v41, v9
	v_cvt_f32_f16_e32 v33, v28
	v_cvt_f32_f16_e32 v34, v27
	v_cvt_i32_f32_e32 v44, v45
	v_cvt_i32_f32_e32 v45, v47
	v_fma_mix_f32 v27, -v27, s27, v48 op_sel_hi:[1,0,0]
	v_sub_f32_e32 v42, v42, v49
	v_fma_mix_f32 v28, -v28, s27, v50 op_sel_hi:[1,0,0]
	v_sub_f32_e32 v43, v43, v51
	v_exp_f32_e32 v8, v8
	v_exp_f32_e32 v9, v9
	v_add_f32_e32 v27, v42, v27
	v_add_f32_e32 v28, v43, v28
	v_cvt_i32_f32_e32 v46, v49
	v_cvt_i32_f32_e32 v47, v51
	v_exp_f32_e32 v27, v27
	v_exp_f32_e32 v28, v28
	v_ldexp_f32 v8, v8, v44
	v_ldexp_f32 v9, v9, v45
	v_cmp_ngt_f32_e32 vcc, s28, v39
	v_cmp_ngt_f32_e64 s[4:5], s28, v38
	v_cndmask_b32_e64 v8, 0, v8, s[4:5]
	v_cndmask_b32_e32 v9, 0, v9, vcc
	v_cmp_nlt_f32_e32 vcc, s29, v39
	v_cmp_nlt_f32_e64 s[4:5], s29, v38
	v_ldexp_f32 v27, v27, v46
	v_cmp_ngt_f32_e64 s[0:1], s28, v40
	v_ldexp_f32 v28, v28, v47
	v_cmp_ngt_f32_e64 s[2:3], s28, v37
	v_cndmask_b32_e64 v8, v26, v8, s[4:5]
	v_cndmask_b32_e32 v9, v26, v9, vcc
	v_cndmask_b32_e64 v27, 0, v27, s[0:1]
	v_cmp_nlt_f32_e64 s[0:1], s29, v40
	v_cndmask_b32_e64 v29, 0, v28, s[2:3]
	v_cmp_nlt_f32_e64 s[2:3], s29, v37
	v_pk_add_f32 v[8:9], v[8:9], 1.0 op_sel_hi:[1,0]
	v_cndmask_b32_e64 v28, v26, v27, s[0:1]
	v_cndmask_b32_e64 v29, v26, v29, s[2:3]
	v_div_scale_f32 v27, s[0:1], v8, v8, v36
	v_pk_add_f32 v[28:29], v[28:29], 1.0 op_sel_hi:[1,0]
	v_div_scale_f32 v38, s[0:1], v9, v9, v35
	v_rcp_f32_e32 v44, v27
	v_div_scale_f32 v40, s[2:3], v28, v28, v34
	v_rcp_f32_e32 v45, v38
	;; [unrolled: 2-line block ×3, first 2 shown]
	v_rcp_f32_e32 v47, v42
	v_fma_f32 v48, -v27, v44, 1.0
	v_div_scale_f32 v37, vcc, v36, v8, v36
	v_fma_f32 v49, -v38, v45, 1.0
	v_fmac_f32_e32 v44, v48, v44
	v_div_scale_f32 v39, s[0:1], v35, v9, v35
	v_fma_f32 v50, -v40, v46, 1.0
	v_fmac_f32_e32 v45, v49, v45
	v_mul_f32_e32 v48, v37, v44
	v_div_scale_f32 v41, s[2:3], v34, v28, v34
	v_fma_f32 v51, -v42, v47, 1.0
	v_fmac_f32_e32 v46, v50, v46
	v_mul_f32_e32 v49, v39, v45
	v_fma_f32 v52, -v27, v48, v37
	v_div_scale_f32 v43, s[4:5], v33, v29, v33
	v_fmac_f32_e32 v47, v51, v47
	v_mul_f32_e32 v50, v41, v46
	v_fma_f32 v53, -v38, v49, v39
	v_fmac_f32_e32 v48, v52, v44
	v_cvt_f32_f16_sdwa v31, v32 dst_sel:DWORD dst_unused:UNUSED_PAD src0_sel:WORD_1
	v_cvt_f32_f16_e32 v32, v32
	v_mul_f32_e32 v51, v43, v47
	v_fma_f32 v54, -v40, v50, v41
	v_fmac_f32_e32 v49, v53, v45
	v_fma_f32 v27, -v27, v48, v37
	v_fma_f32 v55, -v42, v51, v43
	v_fmac_f32_e32 v50, v54, v46
	v_fma_f32 v37, -v38, v49, v39
	v_div_fmas_f32 v27, v27, v44, v48
	s_mov_b64 vcc, s[0:1]
	v_fmac_f32_e32 v51, v55, v47
	v_fma_f32 v38, -v40, v50, v41
	v_div_fixup_f32 v8, v27, v8, v36
	v_div_fmas_f32 v27, v37, v45, v49
	s_mov_b64 vcc, s[2:3]
	v_fma_f32 v39, -v42, v51, v43
	v_div_fixup_f32 v9, v27, v9, v35
	v_div_fmas_f32 v27, v38, v46, v50
	s_mov_b64 vcc, s[4:5]
	v_min_f32_e32 v32, v32, v19
	v_min_f32_e32 v31, v31, v18
	v_div_fixup_f32 v27, v27, v28, v34
	v_div_fmas_f32 v28, v39, v47, v51
	v_max_f32_e32 v31, v31, v24
	v_max_f32_e32 v32, v32, v25
	v_cvt_f16_f32_e32 v8, v8
	v_cvt_f16_f32_e32 v9, v9
	v_div_fixup_f32 v28, v28, v29, v33
	v_cvt_f16_f32_e32 v32, v32
	v_cvt_f16_f32_e32 v31, v31
	;; [unrolled: 1-line block ×4, first 2 shown]
	v_pack_b32_f16 v8, v8, v9
	v_pack_b32_f16 v29, v32, v31
	v_pk_mul_f16 v9, v30, v8
	v_pack_b32_f16 v8, v27, v28
	v_pk_mul_f16 v8, v29, v8
	global_store_dwordx2 v[10:11], v[8:9], off
	s_andn2_b64 exec, exec, s[20:21]
	s_cbranch_execnz .LBB18_7
; %bb.8:
	s_or_b64 exec, exec, s[20:21]
	v_mad_u64_u32 v[0:1], s[0:1], v4, s24, v[0:1]
	v_mov_b32_e32 v6, v1
	v_mad_u64_u32 v[6:7], s[0:1], v5, s24, v[6:7]
	v_cmp_ne_u64_e32 vcc, v[2:3], v[4:5]
	v_mov_b32_e32 v1, v6
	s_orn2_b64 s[0:1], vcc, exec
.LBB18_9:
	s_or_b64 exec, exec, s[18:19]
	s_and_b64 exec, exec, s[0:1]
	s_cbranch_execz .LBB18_12
; %bb.10:
	s_lshl_b64 s[0:1], s[16:17], 1
	s_waitcnt lgkmcnt(0)
	s_add_u32 s4, s10, s0
	s_addc_u32 s10, s11, s1
	s_lshl_b64 s[0:1], s[12:13], 1
	s_add_u32 s5, s4, s0
	s_addc_u32 s11, s10, s1
	s_lshl_b64 s[0:1], s[6:7], 1
	s_add_u32 s6, s8, s0
	s_addc_u32 s0, s9, s1
	s_mov_b32 s1, 0
	v_lshlrev_b64 v[2:3], 1, v[0:1]
	s_lshl_b32 s7, s24, 1
	s_mov_b64 s[2:3], 0
	v_mov_b32_e32 v4, s10
	v_mov_b32_e32 v5, s11
	v_max_f32_e64 v6, s15, s15
	v_max_f32_e64 v7, -s15, -s15
	s_mov_b32 s8, 0x3fb8aa3b
	s_mov_b32 s9, 0x32a5705f
	;; [unrolled: 1-line block ×4, first 2 shown]
	v_mov_b32_e32 v8, 0x7f800000
	v_mov_b32_e32 v9, s0
	;; [unrolled: 1-line block ×4, first 2 shown]
.LBB18_11:                              ; =>This Inner Loop Header: Depth=1
	v_add_co_u32_e32 v12, vcc, s4, v2
	v_addc_co_u32_e32 v13, vcc, v4, v3, vcc
	v_add_co_u32_e32 v14, vcc, s5, v2
	v_addc_co_u32_e32 v15, vcc, v5, v3, vcc
	global_load_ushort v16, v[12:13], off
	global_load_ushort v17, v[14:15], off
	v_add_co_u32_e32 v12, vcc, s6, v2
	v_addc_co_u32_e32 v13, vcc, v9, v3, vcc
	v_add_co_u32_e32 v0, vcc, s24, v0
	v_addc_co_u32_e32 v1, vcc, v1, v10, vcc
	v_add_co_u32_e64 v2, s[0:1], s7, v2
	s_waitcnt vmcnt(1)
	v_cvt_f32_f16_e32 v14, v16
	s_waitcnt vmcnt(0)
	v_cvt_f32_f16_e32 v15, v17
	v_min_f32_e32 v14, v14, v6
	v_cvt_f16_f32_e32 v14, v14
	v_min_f32_e32 v15, v15, v6
	v_max_f32_e32 v15, v15, v7
	v_cvt_f16_f32_e32 v15, v15
	v_cvt_f32_f16_e64 v16, -v14
	v_cvt_f32_f16_e32 v17, v14
	v_mul_f32_e32 v18, 0x3fb8aa3b, v16
	v_fma_mix_f32 v19, -v14, s8, -v18 op_sel_hi:[1,0,0]
	v_rndne_f32_e32 v20, v18
	v_fma_mix_f32 v14, -v14, s9, v19 op_sel_hi:[1,0,0]
	v_sub_f32_e32 v18, v18, v20
	v_add_f32_e32 v14, v18, v14
	v_cvt_i32_f32_e32 v19, v20
	v_exp_f32_e32 v14, v14
	v_cmp_ngt_f32_e32 vcc, s10, v16
	v_ldexp_f32 v14, v14, v19
	v_cndmask_b32_e32 v14, 0, v14, vcc
	v_cmp_nlt_f32_e32 vcc, s11, v16
	v_cndmask_b32_e32 v14, v8, v14, vcc
	v_add_f32_e32 v14, 1.0, v14
	v_div_scale_f32 v16, s[14:15], v14, v14, v17
	v_rcp_f32_e32 v18, v16
	v_div_scale_f32 v19, vcc, v17, v14, v17
	v_fma_f32 v20, -v16, v18, 1.0
	v_fmac_f32_e32 v18, v20, v18
	v_mul_f32_e32 v20, v19, v18
	v_fma_f32 v21, -v16, v20, v19
	v_fmac_f32_e32 v20, v21, v18
	v_fma_f32 v16, -v16, v20, v19
	v_div_fmas_f32 v16, v16, v18, v20
	v_div_fixup_f32 v14, v16, v14, v17
	v_cvt_f16_f32_e32 v14, v14
	v_addc_co_u32_e64 v3, vcc, v3, v11, s[0:1]
	v_cmp_le_i64_e32 vcc, s[12:13], v[0:1]
	s_or_b64 s[2:3], vcc, s[2:3]
	v_mul_f16_e32 v14, v15, v14
	global_store_short v[12:13], v14, off
	s_andn2_b64 exec, exec, s[2:3]
	s_cbranch_execnz .LBB18_11
.LBB18_12:
	s_endpgm
	.section	.rodata,"a",@progbits
	.p2align	6, 0x0
	.amdhsa_kernel _ZN4vllm18act_and_mul_kernelIN3c104HalfE7__half2TnPFT_RKS4_EXadL_ZNS_11silu_kernelIS2_EES4_S6_EETnPFT0_RKSA_EXadL_ZNS_18packed_silu_kernelIS3_EES4_S6_EELb1ELb0ELb1ELb0EEEvPS4_PS5_if
		.amdhsa_group_segment_fixed_size 0
		.amdhsa_private_segment_fixed_size 0
		.amdhsa_kernarg_size 280
		.amdhsa_user_sgpr_count 6
		.amdhsa_user_sgpr_private_segment_buffer 1
		.amdhsa_user_sgpr_dispatch_ptr 0
		.amdhsa_user_sgpr_queue_ptr 0
		.amdhsa_user_sgpr_kernarg_segment_ptr 1
		.amdhsa_user_sgpr_dispatch_id 0
		.amdhsa_user_sgpr_flat_scratch_init 0
		.amdhsa_user_sgpr_kernarg_preload_length 0
		.amdhsa_user_sgpr_kernarg_preload_offset 0
		.amdhsa_user_sgpr_private_segment_size 0
		.amdhsa_uses_dynamic_stack 0
		.amdhsa_system_sgpr_private_segment_wavefront_offset 0
		.amdhsa_system_sgpr_workgroup_id_x 1
		.amdhsa_system_sgpr_workgroup_id_y 0
		.amdhsa_system_sgpr_workgroup_id_z 0
		.amdhsa_system_sgpr_workgroup_info 0
		.amdhsa_system_vgpr_workitem_id 0
		.amdhsa_next_free_vgpr 56
		.amdhsa_next_free_sgpr 30
		.amdhsa_accum_offset 56
		.amdhsa_reserve_vcc 1
		.amdhsa_reserve_flat_scratch 0
		.amdhsa_float_round_mode_32 0
		.amdhsa_float_round_mode_16_64 0
		.amdhsa_float_denorm_mode_32 3
		.amdhsa_float_denorm_mode_16_64 3
		.amdhsa_dx10_clamp 1
		.amdhsa_ieee_mode 1
		.amdhsa_fp16_overflow 0
		.amdhsa_tg_split 0
		.amdhsa_exception_fp_ieee_invalid_op 0
		.amdhsa_exception_fp_denorm_src 0
		.amdhsa_exception_fp_ieee_div_zero 0
		.amdhsa_exception_fp_ieee_overflow 0
		.amdhsa_exception_fp_ieee_underflow 0
		.amdhsa_exception_fp_ieee_inexact 0
		.amdhsa_exception_int_div_zero 0
	.end_amdhsa_kernel
	.section	.text._ZN4vllm18act_and_mul_kernelIN3c104HalfE7__half2TnPFT_RKS4_EXadL_ZNS_11silu_kernelIS2_EES4_S6_EETnPFT0_RKSA_EXadL_ZNS_18packed_silu_kernelIS3_EES4_S6_EELb1ELb0ELb1ELb0EEEvPS4_PS5_if,"axG",@progbits,_ZN4vllm18act_and_mul_kernelIN3c104HalfE7__half2TnPFT_RKS4_EXadL_ZNS_11silu_kernelIS2_EES4_S6_EETnPFT0_RKSA_EXadL_ZNS_18packed_silu_kernelIS3_EES4_S6_EELb1ELb0ELb1ELb0EEEvPS4_PS5_if,comdat
.Lfunc_end18:
	.size	_ZN4vllm18act_and_mul_kernelIN3c104HalfE7__half2TnPFT_RKS4_EXadL_ZNS_11silu_kernelIS2_EES4_S6_EETnPFT0_RKSA_EXadL_ZNS_18packed_silu_kernelIS3_EES4_S6_EELb1ELb0ELb1ELb0EEEvPS4_PS5_if, .Lfunc_end18-_ZN4vllm18act_and_mul_kernelIN3c104HalfE7__half2TnPFT_RKS4_EXadL_ZNS_11silu_kernelIS2_EES4_S6_EETnPFT0_RKSA_EXadL_ZNS_18packed_silu_kernelIS3_EES4_S6_EELb1ELb0ELb1ELb0EEEvPS4_PS5_if
                                        ; -- End function
	.section	.AMDGPU.csdata,"",@progbits
; Kernel info:
; codeLenInByte = 2560
; NumSgprs: 34
; NumVgprs: 56
; NumAgprs: 0
; TotalNumVgprs: 56
; ScratchSize: 0
; MemoryBound: 0
; FloatMode: 240
; IeeeMode: 1
; LDSByteSize: 0 bytes/workgroup (compile time only)
; SGPRBlocks: 4
; VGPRBlocks: 6
; NumSGPRsForWavesPerEU: 34
; NumVGPRsForWavesPerEU: 56
; AccumOffset: 56
; Occupancy: 8
; WaveLimiterHint : 0
; COMPUTE_PGM_RSRC2:SCRATCH_EN: 0
; COMPUTE_PGM_RSRC2:USER_SGPR: 6
; COMPUTE_PGM_RSRC2:TRAP_HANDLER: 0
; COMPUTE_PGM_RSRC2:TGID_X_EN: 1
; COMPUTE_PGM_RSRC2:TGID_Y_EN: 0
; COMPUTE_PGM_RSRC2:TGID_Z_EN: 0
; COMPUTE_PGM_RSRC2:TIDIG_COMP_CNT: 0
; COMPUTE_PGM_RSRC3_GFX90A:ACCUM_OFFSET: 13
; COMPUTE_PGM_RSRC3_GFX90A:TG_SPLIT: 0
	.section	.text._ZN4vllm18act_and_mul_kernelIN3c108BFloat16E15__hip_bfloat162TnPFT_RKS4_EXadL_ZNS_11silu_kernelIS2_EES4_S6_EETnPFT0_RKSA_EXadL_ZNS_18packed_silu_kernelIS3_EES4_S6_EELb1ELb0ELb1ELb0EEEvPS4_PS5_if,"axG",@progbits,_ZN4vllm18act_and_mul_kernelIN3c108BFloat16E15__hip_bfloat162TnPFT_RKS4_EXadL_ZNS_11silu_kernelIS2_EES4_S6_EETnPFT0_RKSA_EXadL_ZNS_18packed_silu_kernelIS3_EES4_S6_EELb1ELb0ELb1ELb0EEEvPS4_PS5_if,comdat
	.protected	_ZN4vllm18act_and_mul_kernelIN3c108BFloat16E15__hip_bfloat162TnPFT_RKS4_EXadL_ZNS_11silu_kernelIS2_EES4_S6_EETnPFT0_RKSA_EXadL_ZNS_18packed_silu_kernelIS3_EES4_S6_EELb1ELb0ELb1ELb0EEEvPS4_PS5_if ; -- Begin function _ZN4vllm18act_and_mul_kernelIN3c108BFloat16E15__hip_bfloat162TnPFT_RKS4_EXadL_ZNS_11silu_kernelIS2_EES4_S6_EETnPFT0_RKSA_EXadL_ZNS_18packed_silu_kernelIS3_EES4_S6_EELb1ELb0ELb1ELb0EEEvPS4_PS5_if
	.globl	_ZN4vllm18act_and_mul_kernelIN3c108BFloat16E15__hip_bfloat162TnPFT_RKS4_EXadL_ZNS_11silu_kernelIS2_EES4_S6_EETnPFT0_RKSA_EXadL_ZNS_18packed_silu_kernelIS3_EES4_S6_EELb1ELb0ELb1ELb0EEEvPS4_PS5_if
	.p2align	8
	.type	_ZN4vllm18act_and_mul_kernelIN3c108BFloat16E15__hip_bfloat162TnPFT_RKS4_EXadL_ZNS_11silu_kernelIS2_EES4_S6_EETnPFT0_RKSA_EXadL_ZNS_18packed_silu_kernelIS3_EES4_S6_EELb1ELb0ELb1ELb0EEEvPS4_PS5_if,@function
_ZN4vllm18act_and_mul_kernelIN3c108BFloat16E15__hip_bfloat162TnPFT_RKS4_EXadL_ZNS_11silu_kernelIS2_EES4_S6_EETnPFT0_RKSA_EXadL_ZNS_18packed_silu_kernelIS3_EES4_S6_EELb1ELb0ELb1ELb0EEEvPS4_PS5_if: ; @_ZN4vllm18act_and_mul_kernelIN3c108BFloat16E15__hip_bfloat162TnPFT_RKS4_EXadL_ZNS_11silu_kernelIS2_EES4_S6_EETnPFT0_RKSA_EXadL_ZNS_18packed_silu_kernelIS3_EES4_S6_EELb1ELb0ELb1ELb0EEEvPS4_PS5_if
; %bb.0:
	s_load_dwordx2 s[14:15], s[4:5], 0x10
	s_waitcnt lgkmcnt(0)
	v_cmp_gt_i32_e32 vcc, s14, v0
	s_and_saveexec_b64 s[0:1], vcc
	s_cbranch_execz .LBB19_12
; %bb.1:
	s_load_dword s0, s[4:5], 0x24
	s_ashr_i32 s13, s14, 31
	s_mov_b32 s12, s14
	v_mov_b32_e32 v2, s13
	v_mov_b32_e32 v1, 0
	s_waitcnt lgkmcnt(0)
	s_and_b32 s24, s0, 0xffff
	v_add_co_u32_e32 v4, vcc, s24, v0
	v_addc_co_u32_e64 v5, s[0:1], 0, 0, vcc
	v_cmp_lt_i64_e32 vcc, s[12:13], v[4:5]
	v_cndmask_b32_e32 v6, v2, v5, vcc
	v_mov_b32_e32 v2, s14
	v_cndmask_b32_e32 v3, v2, v4, vcc
	v_cmp_gt_i64_e32 vcc, s[12:13], v[4:5]
	v_cndmask_b32_e64 v2, 0, 1, vcc
	v_add_co_u32_e32 v4, vcc, v4, v2
	v_addc_co_u32_e32 v5, vcc, 0, v5, vcc
	v_sub_co_u32_e32 v3, vcc, v3, v4
	v_subb_co_u32_e32 v5, vcc, v6, v5, vcc
	v_mov_b32_e32 v4, v1
	s_mov_b32 s25, 0
	v_cmp_ne_u64_e32 vcc, 0, v[4:5]
                                        ; implicit-def: $vgpr6_vgpr7
	s_and_saveexec_b64 s[0:1], vcc
	s_xor_b64 s[2:3], exec, s[0:1]
	s_cbranch_execz .LBB19_3
; %bb.2:
	v_cvt_f32_u32_e32 v4, s24
	v_mov_b32_e32 v6, 0x4f800000
	s_sub_u32 s0, 0, s24
	s_subb_u32 s1, 0, 0
	v_mac_f32_e32 v4, 0, v6
	v_rcp_f32_e32 v4, v4
	v_mul_f32_e32 v4, 0x5f7ffffc, v4
	v_mul_f32_e32 v6, 0x2f800000, v4
	v_trunc_f32_e32 v6, v6
	v_madmk_f32 v4, v6, 0xcf800000, v4
	v_cvt_u32_f32_e32 v6, v6
	v_cvt_u32_f32_e32 v4, v4
	v_mul_lo_u32 v7, s0, v6
	v_mul_hi_u32 v9, s0, v4
	v_mul_lo_u32 v8, s1, v4
	v_add_u32_e32 v7, v9, v7
	v_mul_lo_u32 v10, s0, v4
	v_add_u32_e32 v7, v7, v8
	v_mul_hi_u32 v9, v4, v10
	v_mul_lo_u32 v11, v4, v7
	v_mul_hi_u32 v8, v4, v7
	v_add_co_u32_e32 v9, vcc, v9, v11
	v_addc_co_u32_e32 v8, vcc, 0, v8, vcc
	v_mul_hi_u32 v12, v6, v10
	v_mul_lo_u32 v10, v6, v10
	v_add_co_u32_e32 v9, vcc, v9, v10
	v_mul_hi_u32 v11, v6, v7
	v_addc_co_u32_e32 v8, vcc, v8, v12, vcc
	v_addc_co_u32_e32 v9, vcc, 0, v11, vcc
	v_mul_lo_u32 v7, v6, v7
	v_add_co_u32_e32 v7, vcc, v8, v7
	v_addc_co_u32_e32 v8, vcc, 0, v9, vcc
	v_add_co_u32_e32 v4, vcc, v4, v7
	v_addc_co_u32_e32 v6, vcc, v6, v8, vcc
	v_mul_lo_u32 v7, s0, v6
	v_mul_hi_u32 v8, s0, v4
	v_add_u32_e32 v7, v8, v7
	v_mul_lo_u32 v8, s1, v4
	v_add_u32_e32 v7, v7, v8
	v_mul_lo_u32 v9, s0, v4
	v_mul_hi_u32 v10, v6, v9
	v_mul_lo_u32 v11, v6, v9
	v_mul_lo_u32 v13, v4, v7
	v_mul_hi_u32 v9, v4, v9
	v_mul_hi_u32 v12, v4, v7
	v_add_co_u32_e32 v9, vcc, v9, v13
	v_addc_co_u32_e32 v12, vcc, 0, v12, vcc
	v_add_co_u32_e32 v9, vcc, v9, v11
	v_mul_hi_u32 v8, v6, v7
	v_addc_co_u32_e32 v9, vcc, v12, v10, vcc
	v_addc_co_u32_e32 v8, vcc, 0, v8, vcc
	v_mul_lo_u32 v7, v6, v7
	v_add_co_u32_e32 v7, vcc, v9, v7
	v_addc_co_u32_e32 v8, vcc, 0, v8, vcc
	v_add_co_u32_e32 v4, vcc, v4, v7
	v_addc_co_u32_e32 v8, vcc, v6, v8, vcc
	v_mad_u64_u32 v[6:7], s[0:1], v3, v8, 0
	v_mul_hi_u32 v9, v3, v4
	v_add_co_u32_e32 v10, vcc, v9, v6
	v_addc_co_u32_e32 v11, vcc, 0, v7, vcc
	v_mad_u64_u32 v[6:7], s[0:1], v5, v8, 0
	v_mad_u64_u32 v[8:9], s[0:1], v5, v4, 0
	v_add_co_u32_e32 v4, vcc, v10, v8
	v_addc_co_u32_e32 v4, vcc, v11, v9, vcc
	v_addc_co_u32_e32 v7, vcc, 0, v7, vcc
	v_add_co_u32_e32 v10, vcc, v4, v6
	v_addc_co_u32_e32 v11, vcc, 0, v7, vcc
	v_mad_u64_u32 v[6:7], s[0:1], s24, v10, 0
	v_mov_b32_e32 v4, v7
	v_mad_u64_u32 v[8:9], s[0:1], s24, v11, v[4:5]
	v_sub_co_u32_e32 v3, vcc, v3, v6
	v_subb_co_u32_e32 v4, vcc, v5, v8, vcc
	v_subrev_co_u32_e32 v5, vcc, s24, v3
	v_subbrev_co_u32_e32 v6, vcc, 0, v4, vcc
	v_cmp_le_u32_e32 vcc, s24, v5
	v_cndmask_b32_e64 v5, 0, -1, vcc
	v_cmp_eq_u32_e32 vcc, 0, v6
	v_cndmask_b32_e32 v5, -1, v5, vcc
	v_add_co_u32_e32 v6, vcc, 2, v10
	v_addc_co_u32_e32 v7, vcc, 0, v11, vcc
	v_add_co_u32_e32 v8, vcc, 1, v10
	v_cmp_le_u32_e64 s[0:1], s24, v3
	v_addc_co_u32_e32 v9, vcc, 0, v11, vcc
	v_cndmask_b32_e64 v3, 0, -1, s[0:1]
	v_cmp_eq_u32_e64 s[0:1], 0, v4
	v_cmp_ne_u32_e32 vcc, 0, v5
	v_cndmask_b32_e64 v3, -1, v3, s[0:1]
	v_cndmask_b32_e32 v5, v9, v7, vcc
	v_cmp_ne_u32_e64 s[0:1], 0, v3
	v_cndmask_b32_e32 v3, v8, v6, vcc
	v_cndmask_b32_e64 v7, v11, v5, s[0:1]
	v_cndmask_b32_e64 v6, v10, v3, s[0:1]
                                        ; implicit-def: $vgpr3
.LBB19_3:
	s_or_saveexec_b64 s[0:1], s[2:3]
	s_load_dwordx4 s[8:11], s[4:5], 0x0
	s_xor_b64 exec, exec, s[0:1]
	s_cbranch_execz .LBB19_5
; %bb.4:
	v_cvt_f32_u32_e32 v4, s24
	s_sub_i32 s2, 0, s24
	v_mov_b32_e32 v7, 0
	v_rcp_iflag_f32_e32 v4, v4
	v_mul_f32_e32 v4, 0x4f7ffffe, v4
	v_cvt_u32_f32_e32 v4, v4
	v_mul_lo_u32 v5, s2, v4
	v_mul_hi_u32 v5, v4, v5
	v_add_u32_e32 v4, v4, v5
	v_mul_hi_u32 v4, v3, v4
	v_mul_lo_u32 v5, v4, s24
	v_sub_u32_e32 v3, v3, v5
	v_add_u32_e32 v6, 1, v4
	v_subrev_u32_e32 v5, s24, v3
	v_cmp_le_u32_e32 vcc, s24, v3
	v_cndmask_b32_e32 v3, v3, v5, vcc
	v_cndmask_b32_e32 v4, v4, v6, vcc
	v_add_u32_e32 v5, 1, v4
	v_cmp_le_u32_e32 vcc, s24, v3
	v_cndmask_b32_e32 v6, v4, v5, vcc
.LBB19_5:
	s_or_b64 exec, exec, s[0:1]
	v_add_co_u32_e32 v2, vcc, v6, v2
	v_addc_co_u32_e32 v3, vcc, 0, v7, vcc
	v_add_co_u32_e32 v2, vcc, 1, v2
	v_addc_co_u32_e32 v3, vcc, 0, v3, vcc
	s_mul_i32 s6, s6, s14
	s_mov_b32 s17, 0
	v_cmp_lt_u64_e32 vcc, 3, v[2:3]
	v_cmp_eq_u16_e64 s[0:1], s24, 1
	s_lshl_b32 s16, s6, 1
	s_mov_b32 s7, s17
	s_and_b64 s[2:3], vcc, s[0:1]
	s_mov_b64 s[0:1], -1
	s_and_saveexec_b64 s[18:19], s[2:3]
	s_cbranch_execz .LBB19_9
; %bb.6:
	s_xor_b32 s5, s15, 0x80000000
	s_lshl_b64 s[0:1], s[16:17], 1
	s_waitcnt lgkmcnt(0)
	s_add_u32 s0, s10, s0
	v_lshlrev_b32_e32 v6, 1, v0
	s_addc_u32 s1, s11, s1
	v_mov_b32_e32 v7, s1
	v_add_co_u32_e32 v14, vcc, s0, v6
	v_addc_co_u32_e32 v15, vcc, 0, v7, vcc
	s_lshl_b64 s[0:1], s[12:13], 1
	s_lshl_b32 s14, s24, 3
	v_mov_b32_e32 v7, s1
	v_add_co_u32_e32 v16, vcc, s0, v14
	s_lshl_b64 s[0:1], s[6:7], 1
	s_add_u32 s0, s8, s0
	v_addc_co_u32_e32 v17, vcc, v15, v7, vcc
	s_addc_u32 s1, s9, s1
	v_and_b32_e32 v4, -4, v2
	v_mov_b32_e32 v5, v3
	s_mov_b32 s2, s15
	s_mov_b32 s3, s15
	;; [unrolled: 1-line block ×6, first 2 shown]
	v_mov_b32_e32 v7, s1
	v_add_co_u32_e32 v18, vcc, s0, v6
	v_addc_co_u32_e32 v19, vcc, 0, v7, vcc
	s_mov_b64 s[20:21], 0
	v_max_f32_e64 v20, s15, s15
	v_max_f32_e64 v21, s2, s2
	;; [unrolled: 1-line block ×4, first 2 shown]
	s_movk_i32 s26, 0x7fff
	v_max_f32_e64 v24, s22, s22
	v_max_f32_e64 v25, s5, s5
	;; [unrolled: 1-line block ×4, first 2 shown]
	v_mov_b32_e32 v28, 0x7fc00000
	s_mov_b32 s27, 0x3fb8aa3b
	s_mov_b32 s28, 0xc2ce8ed0
	s_mov_b32 s29, 0x42b17218
	v_mov_b32_e32 v29, 0x7f800000
	v_mov_b32_e32 v30, 0x7fc0
	s_mov_b32 s30, 0x5040100
	s_mov_b64 s[22:23], 0
	v_pk_mov_b32 v[6:7], v[4:5], v[4:5] op_sel:[0,1]
.LBB19_7:                               ; =>This Inner Loop Header: Depth=1
	v_add_co_u32_e64 v6, s[2:3], -4, v6
	v_addc_co_u32_e64 v7, s[2:3], -1, v7, s[2:3]
	v_mov_b32_e32 v11, s23
	v_add_co_u32_e64 v12, s[2:3], s22, v14
	v_add_co_u32_e32 v8, vcc, s22, v16
	v_addc_co_u32_e64 v13, s[2:3], v15, v11, s[2:3]
	v_addc_co_u32_e32 v9, vcc, v17, v11, vcc
	global_load_dwordx2 v[32:33], v[12:13], off
	global_load_dwordx2 v[34:35], v[8:9], off
	v_add_co_u32_e64 v10, s[0:1], s22, v18
	s_add_u32 s22, s22, s14
	v_addc_co_u32_e64 v11, vcc, v19, v11, s[0:1]
	s_addc_u32 s23, s23, 0
	v_cmp_eq_u64_e32 vcc, 0, v[6:7]
	s_or_b64 s[20:21], vcc, s[20:21]
	s_waitcnt vmcnt(1)
	v_lshlrev_b32_e32 v12, 16, v32
	v_and_b32_e32 v13, 0xffff0000, v32
	v_lshlrev_b32_e32 v8, 16, v33
	v_and_b32_e32 v9, 0xffff0000, v33
	s_waitcnt vmcnt(0)
	v_and_b32_e32 v31, 0xffff0000, v34
	v_lshlrev_b32_e32 v32, 16, v34
	v_lshlrev_b32_e32 v34, 16, v35
	v_max_f32_e32 v13, v13, v13
	v_max_f32_e32 v12, v12, v12
	v_and_b32_e32 v33, 0xffff0000, v35
	v_max_f32_e32 v9, v9, v9
	v_max_f32_e32 v8, v8, v8
	;; [unrolled: 1-line block ×3, first 2 shown]
	v_min_f32_e32 v13, v13, v20
	v_min_f32_e32 v12, v12, v21
	v_max_f32_e32 v33, v33, v33
	v_min_f32_e32 v9, v9, v22
	v_min_f32_e32 v8, v8, v23
	;; [unrolled: 1-line block ×3, first 2 shown]
	v_bfe_u32 v37, v12, 16, 1
	v_bfe_u32 v38, v13, 16, 1
	v_max_f32_e32 v32, v32, v32
	v_min_f32_e32 v33, v33, v22
	v_bfe_u32 v35, v8, 16, 1
	v_bfe_u32 v36, v9, 16, 1
	v_max_f32_e32 v34, v34, v27
	v_add3_u32 v38, v13, v38, s26
	v_add3_u32 v37, v12, v37, s26
	v_max_f32_e32 v31, v31, v31
	v_min_f32_e32 v32, v32, v21
	v_max_f32_e32 v33, v33, v26
	v_add3_u32 v36, v9, v36, s26
	v_add3_u32 v35, v8, v35, s26
	v_bfe_u32 v39, v34, 16, 1
	v_and_b32_e32 v37, 0xffff0000, v37
	v_and_b32_e32 v38, 0xffff0000, v38
	v_cmp_o_f32_e32 vcc, v12, v12
	v_cmp_o_f32_e64 s[4:5], v13, v13
	v_min_f32_e32 v31, v31, v20
	v_max_f32_e32 v32, v32, v25
	v_bfe_u32 v40, v33, 16, 1
	v_and_b32_e32 v35, 0xffff0000, v35
	v_and_b32_e32 v36, 0xffff0000, v36
	v_add3_u32 v39, v34, v39, s26
	v_cmp_o_f32_e64 s[0:1], v9, v9
	v_cmp_o_f32_e64 s[2:3], v8, v8
	v_cndmask_b32_e64 v38, v28, v38, s[4:5]
	v_cndmask_b32_e32 v37, v28, v37, vcc
	v_max_f32_e32 v31, v31, v24
	v_bfe_u32 v41, v32, 16, 1
	v_add3_u32 v40, v33, v40, s26
	v_and_b32_e32 v8, 0xffff0000, v39
	v_cndmask_b32_e64 v36, v28, v36, s[0:1]
	v_cndmask_b32_e64 v39, v28, v35, s[2:3]
	v_cmp_o_f32_e64 s[0:1], v33, v33
	v_cmp_o_f32_e64 s[2:3], v34, v34
	v_xor_b32_e32 v33, 0x80000000, v37
	v_xor_b32_e32 v34, 0x80000000, v38
	v_bfe_u32 v42, v31, 16, 1
	v_add3_u32 v41, v32, v41, s26
	v_and_b32_e32 v9, 0xffff0000, v40
	v_cmp_o_f32_e32 vcc, v32, v32
	v_xor_b32_e32 v32, 0x80000000, v36
	v_bfe_u32 v35, v34, 16, 1
	v_bfe_u32 v40, v33, 16, 1
	v_add3_u32 v42, v31, v42, s26
	v_and_b32_e32 v12, 0xffff0000, v41
	v_cmp_o_f32_e64 s[4:5], v31, v31
	v_xor_b32_e32 v31, 0x80000000, v39
	v_bfe_u32 v41, v32, 16, 1
	v_add3_u32 v33, v33, v40, s26
	v_add3_u32 v34, v34, v35, s26
	v_and_b32_e32 v13, 0xffff0000, v42
	v_cndmask_b32_e64 v9, v28, v9, s[0:1]
	v_cndmask_b32_e64 v8, v28, v8, s[2:3]
	v_bfe_u32 v42, v31, 16, 1
	v_add3_u32 v32, v32, v41, s26
	v_and_b32_e32 v34, 0xffff0000, v34
	v_and_b32_e32 v33, 0xffff0000, v33
	v_cmp_o_f32_e64 s[0:1], v37, v37
	v_cmp_o_f32_e64 s[2:3], v38, v38
	v_cndmask_b32_e32 v12, v28, v12, vcc
	v_add3_u32 v31, v31, v42, s26
	v_and_b32_e32 v32, 0xffff0000, v32
	v_cmp_o_f32_e32 vcc, v36, v36
	v_cndmask_b32_e64 v33, v28, v33, s[0:1]
	v_cndmask_b32_e64 v34, v28, v34, s[2:3]
	;; [unrolled: 1-line block ×3, first 2 shown]
	v_and_b32_e32 v31, 0xffff0000, v31
	v_cmp_o_f32_e64 s[4:5], v39, v39
	v_cndmask_b32_e32 v32, v28, v32, vcc
	v_mul_f32_e32 v35, 0x3fb8aa3b, v34
	v_mul_f32_e32 v40, 0x3fb8aa3b, v33
	v_cndmask_b32_e64 v31, v28, v31, s[4:5]
	v_mul_f32_e32 v41, 0x3fb8aa3b, v32
	v_fma_f32 v43, v34, s27, -v35
	v_rndne_f32_e32 v44, v35
	v_fma_f32 v45, v33, s27, -v40
	v_rndne_f32_e32 v46, v40
	v_mul_f32_e32 v42, 0x3fb8aa3b, v31
	v_fma_f32 v47, v32, s27, -v41
	v_rndne_f32_e32 v48, v41
	v_fmac_f32_e32 v43, 0x32a5705f, v34
	v_sub_f32_e32 v35, v35, v44
	v_fmac_f32_e32 v45, 0x32a5705f, v33
	v_sub_f32_e32 v40, v40, v46
	v_fma_f32 v49, v31, s27, -v42
	v_rndne_f32_e32 v50, v42
	v_fmac_f32_e32 v47, 0x32a5705f, v32
	v_sub_f32_e32 v41, v41, v48
	v_add_f32_e32 v35, v35, v43
	v_add_f32_e32 v40, v40, v45
	v_cvt_i32_f32_e32 v44, v44
	v_cvt_i32_f32_e32 v46, v46
	v_fmac_f32_e32 v49, 0x32a5705f, v31
	v_sub_f32_e32 v42, v42, v50
	v_add_f32_e32 v41, v41, v47
	v_exp_f32_e32 v35, v35
	v_exp_f32_e32 v40, v40
	v_cvt_i32_f32_e32 v48, v48
	v_add_f32_e32 v42, v42, v49
	v_exp_f32_e32 v41, v41
	v_cvt_i32_f32_e32 v50, v50
	v_exp_f32_e32 v42, v42
	v_ldexp_f32 v35, v35, v44
	v_ldexp_f32 v40, v40, v46
	v_cmp_ngt_f32_e32 vcc, s28, v33
	v_cmp_ngt_f32_e64 s[4:5], s28, v34
	v_ldexp_f32 v41, v41, v48
	v_cmp_ngt_f32_e64 s[0:1], s28, v32
	v_cndmask_b32_e64 v35, 0, v35, s[4:5]
	v_cndmask_b32_e32 v40, 0, v40, vcc
	v_cmp_nlt_f32_e32 vcc, s29, v33
	v_cmp_nlt_f32_e64 s[4:5], s29, v34
	v_ldexp_f32 v42, v42, v50
	v_cmp_ngt_f32_e64 s[2:3], s28, v31
	v_cndmask_b32_e64 v41, 0, v41, s[0:1]
	v_cmp_nlt_f32_e64 s[0:1], s29, v32
	v_cndmask_b32_e64 v33, v29, v35, s[4:5]
	v_cndmask_b32_e32 v32, v29, v40, vcc
	v_cndmask_b32_e64 v42, 0, v42, s[2:3]
	v_cmp_nlt_f32_e64 s[2:3], s29, v31
	v_pk_add_f32 v[32:33], v[32:33], 1.0 op_sel_hi:[1,0]
	v_cndmask_b32_e64 v35, v29, v41, s[0:1]
	v_cndmask_b32_e64 v34, v29, v42, s[2:3]
	v_div_scale_f32 v31, s[0:1], v33, v33, v38
	v_pk_add_f32 v[34:35], v[34:35], 1.0 op_sel_hi:[1,0]
	v_div_scale_f32 v41, s[0:1], v32, v32, v37
	v_rcp_f32_e32 v47, v31
	v_div_scale_f32 v43, s[2:3], v35, v35, v36
	v_rcp_f32_e32 v48, v41
	;; [unrolled: 2-line block ×3, first 2 shown]
	v_rcp_f32_e32 v50, v45
	v_fma_f32 v51, -v31, v47, 1.0
	v_div_scale_f32 v40, vcc, v38, v33, v38
	v_fma_f32 v52, -v41, v48, 1.0
	v_fmac_f32_e32 v47, v51, v47
	v_div_scale_f32 v42, s[0:1], v37, v32, v37
	v_fma_f32 v53, -v43, v49, 1.0
	v_fmac_f32_e32 v48, v52, v48
	v_mul_f32_e32 v51, v40, v47
	v_div_scale_f32 v44, s[2:3], v36, v35, v36
	v_fma_f32 v54, -v45, v50, 1.0
	v_fmac_f32_e32 v49, v53, v49
	v_mul_f32_e32 v52, v42, v48
	v_fma_f32 v55, -v31, v51, v40
	v_div_scale_f32 v46, s[4:5], v39, v34, v39
	v_fmac_f32_e32 v50, v54, v50
	v_mul_f32_e32 v53, v44, v49
	v_fma_f32 v56, -v41, v52, v42
	v_fmac_f32_e32 v51, v55, v47
	v_mul_f32_e32 v54, v46, v50
	v_fma_f32 v57, -v43, v53, v44
	v_fmac_f32_e32 v52, v56, v48
	v_fma_f32 v31, -v31, v51, v40
	v_fma_f32 v58, -v45, v54, v46
	v_fmac_f32_e32 v53, v57, v49
	v_fma_f32 v40, -v41, v52, v42
	v_div_fmas_f32 v31, v31, v47, v51
	s_mov_b64 vcc, s[0:1]
	v_fmac_f32_e32 v54, v58, v50
	v_fma_f32 v41, -v43, v53, v44
	v_div_fixup_f32 v31, v31, v33, v38
	v_div_fmas_f32 v33, v40, v48, v52
	s_mov_b64 vcc, s[2:3]
	v_fma_f32 v42, -v45, v54, v46
	v_div_fixup_f32 v32, v33, v32, v37
	v_div_fmas_f32 v33, v41, v49, v53
	v_bfe_u32 v37, v31, 16, 1
	s_mov_b64 vcc, s[4:5]
	v_div_fixup_f32 v35, v33, v35, v36
	v_div_fmas_f32 v33, v42, v50, v54
	v_bfe_u32 v36, v32, 16, 1
	v_add3_u32 v37, v31, v37, s26
	v_div_fixup_f32 v34, v33, v34, v39
	v_bfe_u32 v33, v35, 16, 1
	v_add3_u32 v36, v32, v36, s26
	v_and_b32_e32 v37, 0xffff0000, v37
	v_cmp_o_f32_e32 vcc, v31, v31
	v_bfe_u32 v31, v34, 16, 1
	v_add3_u32 v38, v35, v33, s26
	v_and_b32_e32 v36, 0xffff0000, v36
	v_cndmask_b32_e32 v33, v28, v37, vcc
	v_cmp_o_f32_e32 vcc, v32, v32
	v_add3_u32 v31, v34, v31, s26
	v_and_b32_e32 v37, 0xffff0000, v38
	v_cndmask_b32_e32 v32, v28, v36, vcc
	v_cmp_o_f32_e32 vcc, v35, v35
	v_and_b32_e32 v31, 0xffff0000, v31
	v_cndmask_b32_e32 v35, v28, v37, vcc
	v_cmp_o_f32_e32 vcc, v34, v34
	v_pk_mul_f32 v[12:13], v[12:13], v[32:33]
	v_cndmask_b32_e32 v34, v28, v31, vcc
	v_bfe_u32 v31, v12, 16, 1
	v_bfe_u32 v32, v13, 16, 1
	v_pk_mul_f32 v[8:9], v[8:9], v[34:35]
	v_add3_u32 v32, v13, v32, s26
	v_add3_u32 v31, v12, v31, s26
	v_bfe_u32 v33, v8, 16, 1
	v_bfe_u32 v34, v9, 16, 1
	v_lshrrev_b32_e32 v31, 16, v31
	v_lshrrev_b32_e32 v32, 16, v32
	v_cmp_o_f32_e32 vcc, v13, v13
	v_cmp_o_f32_e64 s[0:1], v12, v12
	v_add3_u32 v12, v9, v34, s26
	v_add3_u32 v13, v8, v33, s26
	v_cndmask_b32_e64 v31, v30, v31, s[0:1]
	v_cndmask_b32_e32 v32, v30, v32, vcc
	v_lshrrev_b32_e32 v13, 16, v13
	v_lshrrev_b32_e32 v33, 16, v12
	v_cmp_o_f32_e32 vcc, v9, v9
	v_cmp_o_f32_e64 s[0:1], v8, v8
	v_cndmask_b32_e64 v8, v30, v13, s[0:1]
	v_cndmask_b32_e32 v9, v30, v33, vcc
	v_perm_b32 v12, v32, v31, s30
	v_perm_b32 v13, v9, v8, s30
	global_store_dwordx2 v[10:11], v[12:13], off
	s_andn2_b64 exec, exec, s[20:21]
	s_cbranch_execnz .LBB19_7
; %bb.8:
	s_or_b64 exec, exec, s[20:21]
	v_mad_u64_u32 v[0:1], s[0:1], v4, s24, v[0:1]
	v_mov_b32_e32 v6, v1
	v_mad_u64_u32 v[6:7], s[0:1], v5, s24, v[6:7]
	v_cmp_ne_u64_e32 vcc, v[2:3], v[4:5]
	v_mov_b32_e32 v1, v6
	s_orn2_b64 s[0:1], vcc, exec
.LBB19_9:
	s_or_b64 exec, exec, s[18:19]
	s_and_b64 exec, exec, s[0:1]
	s_cbranch_execz .LBB19_12
; %bb.10:
	s_lshl_b64 s[0:1], s[16:17], 1
	s_waitcnt lgkmcnt(0)
	s_add_u32 s2, s10, s0
	s_addc_u32 s10, s11, s1
	s_lshl_b64 s[0:1], s[12:13], 1
	s_add_u32 s3, s2, s0
	s_addc_u32 s11, s10, s1
	s_lshl_b64 s[0:1], s[6:7], 1
	s_add_u32 s4, s8, s0
	s_addc_u32 s14, s9, s1
	s_mov_b32 s16, 0
	v_lshlrev_b64 v[2:3], 1, v[0:1]
	s_lshl_b32 s5, s24, 1
	s_mov_b64 s[0:1], 0
	v_mov_b32_e32 v4, s10
	v_mov_b32_e32 v5, s11
	v_max_f32_e64 v6, s15, s15
	s_movk_i32 s6, 0x7fff
	v_max_f32_e64 v7, -s15, -s15
	v_mov_b32_e32 v8, 0x7fc00000
	s_mov_b32 s7, 0x3fb8aa3b
	s_mov_b32 s8, 0xc2ce8ed0
	;; [unrolled: 1-line block ×3, first 2 shown]
	v_mov_b32_e32 v9, 0x7f800000
	v_mov_b32_e32 v10, 0x7fc0
	;; [unrolled: 1-line block ×5, first 2 shown]
.LBB19_11:                              ; =>This Inner Loop Header: Depth=1
	v_add_co_u32_e32 v14, vcc, s2, v2
	v_addc_co_u32_e32 v15, vcc, v4, v3, vcc
	v_add_co_u32_e32 v16, vcc, s3, v2
	v_addc_co_u32_e32 v17, vcc, v5, v3, vcc
	global_load_ushort v18, v[14:15], off
	global_load_ushort v19, v[16:17], off
	v_add_co_u32_e32 v14, vcc, s4, v2
	v_addc_co_u32_e32 v15, vcc, v11, v3, vcc
	v_add_co_u32_e32 v0, vcc, s24, v0
	v_addc_co_u32_e32 v1, vcc, v1, v12, vcc
	;; [unrolled: 2-line block ×3, first 2 shown]
	v_cmp_le_i64_e32 vcc, s[12:13], v[0:1]
	s_or_b64 s[0:1], vcc, s[0:1]
	s_waitcnt vmcnt(1)
	v_lshlrev_b32_e32 v16, 16, v18
	v_max_f32_e32 v16, v16, v16
	s_waitcnt vmcnt(0)
	v_lshlrev_b32_e32 v17, 16, v19
	v_min_f32_e32 v16, v16, v6
	v_max_f32_e32 v17, v17, v17
	v_bfe_u32 v18, v16, 16, 1
	v_min_f32_e32 v17, v17, v6
	v_add3_u32 v18, v16, v18, s6
	v_max_f32_e32 v17, v17, v7
	v_and_b32_e32 v18, 0xffff0000, v18
	v_cmp_o_f32_e32 vcc, v16, v16
	v_bfe_u32 v19, v17, 16, 1
	v_cndmask_b32_e32 v16, v8, v18, vcc
	v_add3_u32 v19, v17, v19, s6
	v_cmp_o_f32_e32 vcc, v17, v17
	v_xor_b32_e32 v17, 0x80000000, v16
	v_and_b32_e32 v18, 0xffff0000, v19
	v_bfe_u32 v19, v17, 16, 1
	v_add3_u32 v17, v17, v19, s6
	v_cndmask_b32_e32 v18, v8, v18, vcc
	v_and_b32_e32 v17, 0xffff0000, v17
	v_cmp_o_f32_e32 vcc, v16, v16
	v_cndmask_b32_e32 v17, v8, v17, vcc
	v_mul_f32_e32 v19, 0x3fb8aa3b, v17
	v_fma_f32 v20, v17, s7, -v19
	v_rndne_f32_e32 v21, v19
	v_fmac_f32_e32 v20, 0x32a5705f, v17
	v_sub_f32_e32 v19, v19, v21
	v_add_f32_e32 v19, v19, v20
	v_cvt_i32_f32_e32 v21, v21
	v_exp_f32_e32 v19, v19
	v_cmp_ngt_f32_e32 vcc, s8, v17
	v_ldexp_f32 v19, v19, v21
	v_cndmask_b32_e32 v19, 0, v19, vcc
	v_cmp_nlt_f32_e32 vcc, s9, v17
	v_cndmask_b32_e32 v17, v9, v19, vcc
	v_add_f32_e32 v17, 1.0, v17
	v_div_scale_f32 v19, s[10:11], v17, v17, v16
	v_rcp_f32_e32 v21, v19
	v_div_scale_f32 v20, vcc, v16, v17, v16
	v_fma_f32 v22, -v19, v21, 1.0
	v_fmac_f32_e32 v21, v22, v21
	v_mul_f32_e32 v22, v20, v21
	v_fma_f32 v23, -v19, v22, v20
	v_fmac_f32_e32 v22, v23, v21
	v_fma_f32 v19, -v19, v22, v20
	v_div_fmas_f32 v19, v19, v21, v22
	v_div_fixup_f32 v16, v19, v17, v16
	v_bfe_u32 v17, v16, 16, 1
	v_add3_u32 v17, v16, v17, s6
	v_and_b32_e32 v17, 0xffff0000, v17
	v_cmp_o_f32_e32 vcc, v16, v16
	v_cndmask_b32_e32 v16, v8, v17, vcc
	v_mul_f32_e32 v16, v18, v16
	v_bfe_u32 v17, v16, 16, 1
	v_add3_u32 v17, v16, v17, s6
	v_lshrrev_b32_e32 v17, 16, v17
	v_cmp_o_f32_e32 vcc, v16, v16
	v_cndmask_b32_e32 v16, v10, v17, vcc
	global_store_short v[14:15], v16, off
	s_andn2_b64 exec, exec, s[0:1]
	s_cbranch_execnz .LBB19_11
.LBB19_12:
	s_endpgm
	.section	.rodata,"a",@progbits
	.p2align	6, 0x0
	.amdhsa_kernel _ZN4vllm18act_and_mul_kernelIN3c108BFloat16E15__hip_bfloat162TnPFT_RKS4_EXadL_ZNS_11silu_kernelIS2_EES4_S6_EETnPFT0_RKSA_EXadL_ZNS_18packed_silu_kernelIS3_EES4_S6_EELb1ELb0ELb1ELb0EEEvPS4_PS5_if
		.amdhsa_group_segment_fixed_size 0
		.amdhsa_private_segment_fixed_size 0
		.amdhsa_kernarg_size 280
		.amdhsa_user_sgpr_count 6
		.amdhsa_user_sgpr_private_segment_buffer 1
		.amdhsa_user_sgpr_dispatch_ptr 0
		.amdhsa_user_sgpr_queue_ptr 0
		.amdhsa_user_sgpr_kernarg_segment_ptr 1
		.amdhsa_user_sgpr_dispatch_id 0
		.amdhsa_user_sgpr_flat_scratch_init 0
		.amdhsa_user_sgpr_kernarg_preload_length 0
		.amdhsa_user_sgpr_kernarg_preload_offset 0
		.amdhsa_user_sgpr_private_segment_size 0
		.amdhsa_uses_dynamic_stack 0
		.amdhsa_system_sgpr_private_segment_wavefront_offset 0
		.amdhsa_system_sgpr_workgroup_id_x 1
		.amdhsa_system_sgpr_workgroup_id_y 0
		.amdhsa_system_sgpr_workgroup_id_z 0
		.amdhsa_system_sgpr_workgroup_info 0
		.amdhsa_system_vgpr_workitem_id 0
		.amdhsa_next_free_vgpr 59
		.amdhsa_next_free_sgpr 31
		.amdhsa_accum_offset 60
		.amdhsa_reserve_vcc 1
		.amdhsa_reserve_flat_scratch 0
		.amdhsa_float_round_mode_32 0
		.amdhsa_float_round_mode_16_64 0
		.amdhsa_float_denorm_mode_32 3
		.amdhsa_float_denorm_mode_16_64 3
		.amdhsa_dx10_clamp 1
		.amdhsa_ieee_mode 1
		.amdhsa_fp16_overflow 0
		.amdhsa_tg_split 0
		.amdhsa_exception_fp_ieee_invalid_op 0
		.amdhsa_exception_fp_denorm_src 0
		.amdhsa_exception_fp_ieee_div_zero 0
		.amdhsa_exception_fp_ieee_overflow 0
		.amdhsa_exception_fp_ieee_underflow 0
		.amdhsa_exception_fp_ieee_inexact 0
		.amdhsa_exception_int_div_zero 0
	.end_amdhsa_kernel
	.section	.text._ZN4vllm18act_and_mul_kernelIN3c108BFloat16E15__hip_bfloat162TnPFT_RKS4_EXadL_ZNS_11silu_kernelIS2_EES4_S6_EETnPFT0_RKSA_EXadL_ZNS_18packed_silu_kernelIS3_EES4_S6_EELb1ELb0ELb1ELb0EEEvPS4_PS5_if,"axG",@progbits,_ZN4vllm18act_and_mul_kernelIN3c108BFloat16E15__hip_bfloat162TnPFT_RKS4_EXadL_ZNS_11silu_kernelIS2_EES4_S6_EETnPFT0_RKSA_EXadL_ZNS_18packed_silu_kernelIS3_EES4_S6_EELb1ELb0ELb1ELb0EEEvPS4_PS5_if,comdat
.Lfunc_end19:
	.size	_ZN4vllm18act_and_mul_kernelIN3c108BFloat16E15__hip_bfloat162TnPFT_RKS4_EXadL_ZNS_11silu_kernelIS2_EES4_S6_EETnPFT0_RKSA_EXadL_ZNS_18packed_silu_kernelIS3_EES4_S6_EELb1ELb0ELb1ELb0EEEvPS4_PS5_if, .Lfunc_end19-_ZN4vllm18act_and_mul_kernelIN3c108BFloat16E15__hip_bfloat162TnPFT_RKS4_EXadL_ZNS_11silu_kernelIS2_EES4_S6_EETnPFT0_RKSA_EXadL_ZNS_18packed_silu_kernelIS3_EES4_S6_EELb1ELb0ELb1ELb0EEEvPS4_PS5_if
                                        ; -- End function
	.section	.AMDGPU.csdata,"",@progbits
; Kernel info:
; codeLenInByte = 3396
; NumSgprs: 35
; NumVgprs: 59
; NumAgprs: 0
; TotalNumVgprs: 59
; ScratchSize: 0
; MemoryBound: 0
; FloatMode: 240
; IeeeMode: 1
; LDSByteSize: 0 bytes/workgroup (compile time only)
; SGPRBlocks: 4
; VGPRBlocks: 7
; NumSGPRsForWavesPerEU: 35
; NumVGPRsForWavesPerEU: 59
; AccumOffset: 60
; Occupancy: 8
; WaveLimiterHint : 0
; COMPUTE_PGM_RSRC2:SCRATCH_EN: 0
; COMPUTE_PGM_RSRC2:USER_SGPR: 6
; COMPUTE_PGM_RSRC2:TRAP_HANDLER: 0
; COMPUTE_PGM_RSRC2:TGID_X_EN: 1
; COMPUTE_PGM_RSRC2:TGID_Y_EN: 0
; COMPUTE_PGM_RSRC2:TGID_Z_EN: 0
; COMPUTE_PGM_RSRC2:TIDIG_COMP_CNT: 0
; COMPUTE_PGM_RSRC3_GFX90A:ACCUM_OFFSET: 14
; COMPUTE_PGM_RSRC3_GFX90A:TG_SPLIT: 0
	.section	.text._ZN4vllm18act_and_mul_kernelIf15HIP_vector_typeIfLj2EETnPFT_RKS3_EXadL_ZNS_11silu_kernelIfEES3_S5_EETnPFT0_RKS9_EXadL_ZNS_18packed_silu_kernelIS2_EES3_S5_EELb0ELb1ELb0ELb1EEEvPS3_PS4_if,"axG",@progbits,_ZN4vllm18act_and_mul_kernelIf15HIP_vector_typeIfLj2EETnPFT_RKS3_EXadL_ZNS_11silu_kernelIfEES3_S5_EETnPFT0_RKS9_EXadL_ZNS_18packed_silu_kernelIS2_EES3_S5_EELb0ELb1ELb0ELb1EEEvPS3_PS4_if,comdat
	.protected	_ZN4vllm18act_and_mul_kernelIf15HIP_vector_typeIfLj2EETnPFT_RKS3_EXadL_ZNS_11silu_kernelIfEES3_S5_EETnPFT0_RKS9_EXadL_ZNS_18packed_silu_kernelIS2_EES3_S5_EELb0ELb1ELb0ELb1EEEvPS3_PS4_if ; -- Begin function _ZN4vllm18act_and_mul_kernelIf15HIP_vector_typeIfLj2EETnPFT_RKS3_EXadL_ZNS_11silu_kernelIfEES3_S5_EETnPFT0_RKS9_EXadL_ZNS_18packed_silu_kernelIS2_EES3_S5_EELb0ELb1ELb0ELb1EEEvPS3_PS4_if
	.globl	_ZN4vllm18act_and_mul_kernelIf15HIP_vector_typeIfLj2EETnPFT_RKS3_EXadL_ZNS_11silu_kernelIfEES3_S5_EETnPFT0_RKS9_EXadL_ZNS_18packed_silu_kernelIS2_EES3_S5_EELb0ELb1ELb0ELb1EEEvPS3_PS4_if
	.p2align	8
	.type	_ZN4vllm18act_and_mul_kernelIf15HIP_vector_typeIfLj2EETnPFT_RKS3_EXadL_ZNS_11silu_kernelIfEES3_S5_EETnPFT0_RKS9_EXadL_ZNS_18packed_silu_kernelIS2_EES3_S5_EELb0ELb1ELb0ELb1EEEvPS3_PS4_if,@function
_ZN4vllm18act_and_mul_kernelIf15HIP_vector_typeIfLj2EETnPFT_RKS3_EXadL_ZNS_11silu_kernelIfEES3_S5_EETnPFT0_RKS9_EXadL_ZNS_18packed_silu_kernelIS2_EES3_S5_EELb0ELb1ELb0ELb1EEEvPS3_PS4_if: ; @_ZN4vllm18act_and_mul_kernelIf15HIP_vector_typeIfLj2EETnPFT_RKS3_EXadL_ZNS_11silu_kernelIfEES3_S5_EETnPFT0_RKS9_EXadL_ZNS_18packed_silu_kernelIS2_EES3_S5_EELb0ELb1ELb0ELb1EEEvPS3_PS4_if
; %bb.0:
	s_add_u32 flat_scratch_lo, s6, s9
	s_load_dword s6, s[4:5], 0x10
	s_addc_u32 flat_scratch_hi, s7, 0
	s_add_u32 s0, s0, s9
	s_addc_u32 s1, s1, 0
	s_mov_b32 s32, 0
	s_waitcnt lgkmcnt(0)
	s_ashr_i32 s7, s6, 31
	s_lshr_b32 s7, s7, 29
	s_add_i32 s6, s6, s7
	s_ashr_i32 s6, s6, 3
	v_cmp_gt_i32_e32 vcc, s6, v0
	s_and_saveexec_b64 s[6:7], vcc
	s_cbranch_execz .LBB20_2
; %bb.1:
	s_add_u32 s8, s4, 24
	s_addc_u32 s9, s5, 0
	s_getpc_b64 s[4:5]
	s_add_u32 s4, s4, .str@rel32@lo+4
	s_addc_u32 s5, s5, .str@rel32@hi+12
	s_getpc_b64 s[6:7]
	s_add_u32 s6, s6, __PRETTY_FUNCTION__._ZN4vllm5ld256ERNS_7u32x8_tEPKS0_@rel32@lo+4
	s_addc_u32 s7, s7, __PRETTY_FUNCTION__._ZN4vllm5ld256ERNS_7u32x8_tEPKS0_@rel32@hi+12
	v_mov_b32_e32 v0, s4
	v_mov_b32_e32 v1, s5
	;; [unrolled: 1-line block ×5, first 2 shown]
	s_getpc_b64 s[10:11]
	s_add_u32 s10, s10, __assert_fail@rel32@lo+4
	s_addc_u32 s11, s11, __assert_fail@rel32@hi+12
	s_swappc_b64 s[30:31], s[10:11]
	; divergent unreachable
.LBB20_2:
	s_endpgm
	.section	.rodata,"a",@progbits
	.p2align	6, 0x0
	.amdhsa_kernel _ZN4vllm18act_and_mul_kernelIf15HIP_vector_typeIfLj2EETnPFT_RKS3_EXadL_ZNS_11silu_kernelIfEES3_S5_EETnPFT0_RKS9_EXadL_ZNS_18packed_silu_kernelIS2_EES3_S5_EELb0ELb1ELb0ELb1EEEvPS3_PS4_if
		.amdhsa_group_segment_fixed_size 0
		.amdhsa_private_segment_fixed_size 64
		.amdhsa_kernarg_size 280
		.amdhsa_user_sgpr_count 8
		.amdhsa_user_sgpr_private_segment_buffer 1
		.amdhsa_user_sgpr_dispatch_ptr 0
		.amdhsa_user_sgpr_queue_ptr 0
		.amdhsa_user_sgpr_kernarg_segment_ptr 1
		.amdhsa_user_sgpr_dispatch_id 0
		.amdhsa_user_sgpr_flat_scratch_init 1
		.amdhsa_user_sgpr_kernarg_preload_length 0
		.amdhsa_user_sgpr_kernarg_preload_offset 0
		.amdhsa_user_sgpr_private_segment_size 0
		.amdhsa_uses_dynamic_stack 0
		.amdhsa_system_sgpr_private_segment_wavefront_offset 1
		.amdhsa_system_sgpr_workgroup_id_x 1
		.amdhsa_system_sgpr_workgroup_id_y 0
		.amdhsa_system_sgpr_workgroup_id_z 0
		.amdhsa_system_sgpr_workgroup_info 0
		.amdhsa_system_vgpr_workitem_id 0
		.amdhsa_next_free_vgpr 51
		.amdhsa_next_free_sgpr 34
		.amdhsa_accum_offset 52
		.amdhsa_reserve_vcc 1
		.amdhsa_reserve_flat_scratch 1
		.amdhsa_float_round_mode_32 0
		.amdhsa_float_round_mode_16_64 0
		.amdhsa_float_denorm_mode_32 3
		.amdhsa_float_denorm_mode_16_64 3
		.amdhsa_dx10_clamp 1
		.amdhsa_ieee_mode 1
		.amdhsa_fp16_overflow 0
		.amdhsa_tg_split 0
		.amdhsa_exception_fp_ieee_invalid_op 0
		.amdhsa_exception_fp_denorm_src 0
		.amdhsa_exception_fp_ieee_div_zero 0
		.amdhsa_exception_fp_ieee_overflow 0
		.amdhsa_exception_fp_ieee_underflow 0
		.amdhsa_exception_fp_ieee_inexact 0
		.amdhsa_exception_int_div_zero 0
	.end_amdhsa_kernel
	.section	.text._ZN4vllm18act_and_mul_kernelIf15HIP_vector_typeIfLj2EETnPFT_RKS3_EXadL_ZNS_11silu_kernelIfEES3_S5_EETnPFT0_RKS9_EXadL_ZNS_18packed_silu_kernelIS2_EES3_S5_EELb0ELb1ELb0ELb1EEEvPS3_PS4_if,"axG",@progbits,_ZN4vllm18act_and_mul_kernelIf15HIP_vector_typeIfLj2EETnPFT_RKS3_EXadL_ZNS_11silu_kernelIfEES3_S5_EETnPFT0_RKS9_EXadL_ZNS_18packed_silu_kernelIS2_EES3_S5_EELb0ELb1ELb0ELb1EEEvPS3_PS4_if,comdat
.Lfunc_end20:
	.size	_ZN4vllm18act_and_mul_kernelIf15HIP_vector_typeIfLj2EETnPFT_RKS3_EXadL_ZNS_11silu_kernelIfEES3_S5_EETnPFT0_RKS9_EXadL_ZNS_18packed_silu_kernelIS2_EES3_S5_EELb0ELb1ELb0ELb1EEEvPS3_PS4_if, .Lfunc_end20-_ZN4vllm18act_and_mul_kernelIf15HIP_vector_typeIfLj2EETnPFT_RKS3_EXadL_ZNS_11silu_kernelIfEES3_S5_EETnPFT0_RKS9_EXadL_ZNS_18packed_silu_kernelIS2_EES3_S5_EELb0ELb1ELb0ELb1EEEvPS3_PS4_if
                                        ; -- End function
	.section	.AMDGPU.csdata,"",@progbits
; Kernel info:
; codeLenInByte = 160
; NumSgprs: 40
; NumVgprs: 51
; NumAgprs: 0
; TotalNumVgprs: 51
; ScratchSize: 64
; MemoryBound: 0
; FloatMode: 240
; IeeeMode: 1
; LDSByteSize: 0 bytes/workgroup (compile time only)
; SGPRBlocks: 4
; VGPRBlocks: 6
; NumSGPRsForWavesPerEU: 40
; NumVGPRsForWavesPerEU: 51
; AccumOffset: 52
; Occupancy: 8
; WaveLimiterHint : 1
; COMPUTE_PGM_RSRC2:SCRATCH_EN: 1
; COMPUTE_PGM_RSRC2:USER_SGPR: 8
; COMPUTE_PGM_RSRC2:TRAP_HANDLER: 0
; COMPUTE_PGM_RSRC2:TGID_X_EN: 1
; COMPUTE_PGM_RSRC2:TGID_Y_EN: 0
; COMPUTE_PGM_RSRC2:TGID_Z_EN: 0
; COMPUTE_PGM_RSRC2:TIDIG_COMP_CNT: 0
; COMPUTE_PGM_RSRC3_GFX90A:ACCUM_OFFSET: 12
; COMPUTE_PGM_RSRC3_GFX90A:TG_SPLIT: 0
	.section	.text._ZN4vllm18act_and_mul_kernelIN3c104HalfE7__half2TnPFT_RKS4_EXadL_ZNS_11silu_kernelIS2_EES4_S6_EETnPFT0_RKSA_EXadL_ZNS_18packed_silu_kernelIS3_EES4_S6_EELb0ELb1ELb0ELb1EEEvPS4_PS5_if,"axG",@progbits,_ZN4vllm18act_and_mul_kernelIN3c104HalfE7__half2TnPFT_RKS4_EXadL_ZNS_11silu_kernelIS2_EES4_S6_EETnPFT0_RKSA_EXadL_ZNS_18packed_silu_kernelIS3_EES4_S6_EELb0ELb1ELb0ELb1EEEvPS4_PS5_if,comdat
	.protected	_ZN4vllm18act_and_mul_kernelIN3c104HalfE7__half2TnPFT_RKS4_EXadL_ZNS_11silu_kernelIS2_EES4_S6_EETnPFT0_RKSA_EXadL_ZNS_18packed_silu_kernelIS3_EES4_S6_EELb0ELb1ELb0ELb1EEEvPS4_PS5_if ; -- Begin function _ZN4vllm18act_and_mul_kernelIN3c104HalfE7__half2TnPFT_RKS4_EXadL_ZNS_11silu_kernelIS2_EES4_S6_EETnPFT0_RKSA_EXadL_ZNS_18packed_silu_kernelIS3_EES4_S6_EELb0ELb1ELb0ELb1EEEvPS4_PS5_if
	.globl	_ZN4vllm18act_and_mul_kernelIN3c104HalfE7__half2TnPFT_RKS4_EXadL_ZNS_11silu_kernelIS2_EES4_S6_EETnPFT0_RKSA_EXadL_ZNS_18packed_silu_kernelIS3_EES4_S6_EELb0ELb1ELb0ELb1EEEvPS4_PS5_if
	.p2align	8
	.type	_ZN4vllm18act_and_mul_kernelIN3c104HalfE7__half2TnPFT_RKS4_EXadL_ZNS_11silu_kernelIS2_EES4_S6_EETnPFT0_RKSA_EXadL_ZNS_18packed_silu_kernelIS3_EES4_S6_EELb0ELb1ELb0ELb1EEEvPS4_PS5_if,@function
_ZN4vllm18act_and_mul_kernelIN3c104HalfE7__half2TnPFT_RKS4_EXadL_ZNS_11silu_kernelIS2_EES4_S6_EETnPFT0_RKSA_EXadL_ZNS_18packed_silu_kernelIS3_EES4_S6_EELb0ELb1ELb0ELb1EEEvPS4_PS5_if: ; @_ZN4vllm18act_and_mul_kernelIN3c104HalfE7__half2TnPFT_RKS4_EXadL_ZNS_11silu_kernelIS2_EES4_S6_EETnPFT0_RKSA_EXadL_ZNS_18packed_silu_kernelIS3_EES4_S6_EELb0ELb1ELb0ELb1EEEvPS4_PS5_if
; %bb.0:
	s_add_u32 flat_scratch_lo, s6, s9
	s_load_dword s6, s[4:5], 0x10
	s_addc_u32 flat_scratch_hi, s7, 0
	s_add_u32 s0, s0, s9
	s_addc_u32 s1, s1, 0
	s_mov_b32 s32, 0
	s_waitcnt lgkmcnt(0)
	s_ashr_i32 s7, s6, 31
	s_lshr_b32 s7, s7, 28
	s_add_i32 s6, s6, s7
	s_ashr_i32 s6, s6, 4
	v_cmp_gt_i32_e32 vcc, s6, v0
	s_and_saveexec_b64 s[6:7], vcc
	s_cbranch_execz .LBB21_2
; %bb.1:
	s_add_u32 s8, s4, 24
	s_addc_u32 s9, s5, 0
	s_getpc_b64 s[4:5]
	s_add_u32 s4, s4, .str@rel32@lo+4
	s_addc_u32 s5, s5, .str@rel32@hi+12
	s_getpc_b64 s[6:7]
	s_add_u32 s6, s6, __PRETTY_FUNCTION__._ZN4vllm5ld256ERNS_7u32x8_tEPKS0_@rel32@lo+4
	s_addc_u32 s7, s7, __PRETTY_FUNCTION__._ZN4vllm5ld256ERNS_7u32x8_tEPKS0_@rel32@hi+12
	v_mov_b32_e32 v0, s4
	v_mov_b32_e32 v1, s5
	;; [unrolled: 1-line block ×5, first 2 shown]
	s_getpc_b64 s[10:11]
	s_add_u32 s10, s10, __assert_fail@rel32@lo+4
	s_addc_u32 s11, s11, __assert_fail@rel32@hi+12
	s_swappc_b64 s[30:31], s[10:11]
	; divergent unreachable
.LBB21_2:
	s_endpgm
	.section	.rodata,"a",@progbits
	.p2align	6, 0x0
	.amdhsa_kernel _ZN4vllm18act_and_mul_kernelIN3c104HalfE7__half2TnPFT_RKS4_EXadL_ZNS_11silu_kernelIS2_EES4_S6_EETnPFT0_RKSA_EXadL_ZNS_18packed_silu_kernelIS3_EES4_S6_EELb0ELb1ELb0ELb1EEEvPS4_PS5_if
		.amdhsa_group_segment_fixed_size 0
		.amdhsa_private_segment_fixed_size 64
		.amdhsa_kernarg_size 280
		.amdhsa_user_sgpr_count 8
		.amdhsa_user_sgpr_private_segment_buffer 1
		.amdhsa_user_sgpr_dispatch_ptr 0
		.amdhsa_user_sgpr_queue_ptr 0
		.amdhsa_user_sgpr_kernarg_segment_ptr 1
		.amdhsa_user_sgpr_dispatch_id 0
		.amdhsa_user_sgpr_flat_scratch_init 1
		.amdhsa_user_sgpr_kernarg_preload_length 0
		.amdhsa_user_sgpr_kernarg_preload_offset 0
		.amdhsa_user_sgpr_private_segment_size 0
		.amdhsa_uses_dynamic_stack 0
		.amdhsa_system_sgpr_private_segment_wavefront_offset 1
		.amdhsa_system_sgpr_workgroup_id_x 1
		.amdhsa_system_sgpr_workgroup_id_y 0
		.amdhsa_system_sgpr_workgroup_id_z 0
		.amdhsa_system_sgpr_workgroup_info 0
		.amdhsa_system_vgpr_workitem_id 0
		.amdhsa_next_free_vgpr 51
		.amdhsa_next_free_sgpr 34
		.amdhsa_accum_offset 52
		.amdhsa_reserve_vcc 1
		.amdhsa_reserve_flat_scratch 1
		.amdhsa_float_round_mode_32 0
		.amdhsa_float_round_mode_16_64 0
		.amdhsa_float_denorm_mode_32 3
		.amdhsa_float_denorm_mode_16_64 3
		.amdhsa_dx10_clamp 1
		.amdhsa_ieee_mode 1
		.amdhsa_fp16_overflow 0
		.amdhsa_tg_split 0
		.amdhsa_exception_fp_ieee_invalid_op 0
		.amdhsa_exception_fp_denorm_src 0
		.amdhsa_exception_fp_ieee_div_zero 0
		.amdhsa_exception_fp_ieee_overflow 0
		.amdhsa_exception_fp_ieee_underflow 0
		.amdhsa_exception_fp_ieee_inexact 0
		.amdhsa_exception_int_div_zero 0
	.end_amdhsa_kernel
	.section	.text._ZN4vllm18act_and_mul_kernelIN3c104HalfE7__half2TnPFT_RKS4_EXadL_ZNS_11silu_kernelIS2_EES4_S6_EETnPFT0_RKSA_EXadL_ZNS_18packed_silu_kernelIS3_EES4_S6_EELb0ELb1ELb0ELb1EEEvPS4_PS5_if,"axG",@progbits,_ZN4vllm18act_and_mul_kernelIN3c104HalfE7__half2TnPFT_RKS4_EXadL_ZNS_11silu_kernelIS2_EES4_S6_EETnPFT0_RKSA_EXadL_ZNS_18packed_silu_kernelIS3_EES4_S6_EELb0ELb1ELb0ELb1EEEvPS4_PS5_if,comdat
.Lfunc_end21:
	.size	_ZN4vllm18act_and_mul_kernelIN3c104HalfE7__half2TnPFT_RKS4_EXadL_ZNS_11silu_kernelIS2_EES4_S6_EETnPFT0_RKSA_EXadL_ZNS_18packed_silu_kernelIS3_EES4_S6_EELb0ELb1ELb0ELb1EEEvPS4_PS5_if, .Lfunc_end21-_ZN4vllm18act_and_mul_kernelIN3c104HalfE7__half2TnPFT_RKS4_EXadL_ZNS_11silu_kernelIS2_EES4_S6_EETnPFT0_RKSA_EXadL_ZNS_18packed_silu_kernelIS3_EES4_S6_EELb0ELb1ELb0ELb1EEEvPS4_PS5_if
                                        ; -- End function
	.section	.AMDGPU.csdata,"",@progbits
; Kernel info:
; codeLenInByte = 160
; NumSgprs: 40
; NumVgprs: 51
; NumAgprs: 0
; TotalNumVgprs: 51
; ScratchSize: 64
; MemoryBound: 0
; FloatMode: 240
; IeeeMode: 1
; LDSByteSize: 0 bytes/workgroup (compile time only)
; SGPRBlocks: 4
; VGPRBlocks: 6
; NumSGPRsForWavesPerEU: 40
; NumVGPRsForWavesPerEU: 51
; AccumOffset: 52
; Occupancy: 8
; WaveLimiterHint : 1
; COMPUTE_PGM_RSRC2:SCRATCH_EN: 1
; COMPUTE_PGM_RSRC2:USER_SGPR: 8
; COMPUTE_PGM_RSRC2:TRAP_HANDLER: 0
; COMPUTE_PGM_RSRC2:TGID_X_EN: 1
; COMPUTE_PGM_RSRC2:TGID_Y_EN: 0
; COMPUTE_PGM_RSRC2:TGID_Z_EN: 0
; COMPUTE_PGM_RSRC2:TIDIG_COMP_CNT: 0
; COMPUTE_PGM_RSRC3_GFX90A:ACCUM_OFFSET: 12
; COMPUTE_PGM_RSRC3_GFX90A:TG_SPLIT: 0
	.section	.text._ZN4vllm18act_and_mul_kernelIN3c108BFloat16E15__hip_bfloat162TnPFT_RKS4_EXadL_ZNS_11silu_kernelIS2_EES4_S6_EETnPFT0_RKSA_EXadL_ZNS_18packed_silu_kernelIS3_EES4_S6_EELb0ELb1ELb0ELb1EEEvPS4_PS5_if,"axG",@progbits,_ZN4vllm18act_and_mul_kernelIN3c108BFloat16E15__hip_bfloat162TnPFT_RKS4_EXadL_ZNS_11silu_kernelIS2_EES4_S6_EETnPFT0_RKSA_EXadL_ZNS_18packed_silu_kernelIS3_EES4_S6_EELb0ELb1ELb0ELb1EEEvPS4_PS5_if,comdat
	.protected	_ZN4vllm18act_and_mul_kernelIN3c108BFloat16E15__hip_bfloat162TnPFT_RKS4_EXadL_ZNS_11silu_kernelIS2_EES4_S6_EETnPFT0_RKSA_EXadL_ZNS_18packed_silu_kernelIS3_EES4_S6_EELb0ELb1ELb0ELb1EEEvPS4_PS5_if ; -- Begin function _ZN4vllm18act_and_mul_kernelIN3c108BFloat16E15__hip_bfloat162TnPFT_RKS4_EXadL_ZNS_11silu_kernelIS2_EES4_S6_EETnPFT0_RKSA_EXadL_ZNS_18packed_silu_kernelIS3_EES4_S6_EELb0ELb1ELb0ELb1EEEvPS4_PS5_if
	.globl	_ZN4vllm18act_and_mul_kernelIN3c108BFloat16E15__hip_bfloat162TnPFT_RKS4_EXadL_ZNS_11silu_kernelIS2_EES4_S6_EETnPFT0_RKSA_EXadL_ZNS_18packed_silu_kernelIS3_EES4_S6_EELb0ELb1ELb0ELb1EEEvPS4_PS5_if
	.p2align	8
	.type	_ZN4vllm18act_and_mul_kernelIN3c108BFloat16E15__hip_bfloat162TnPFT_RKS4_EXadL_ZNS_11silu_kernelIS2_EES4_S6_EETnPFT0_RKSA_EXadL_ZNS_18packed_silu_kernelIS3_EES4_S6_EELb0ELb1ELb0ELb1EEEvPS4_PS5_if,@function
_ZN4vllm18act_and_mul_kernelIN3c108BFloat16E15__hip_bfloat162TnPFT_RKS4_EXadL_ZNS_11silu_kernelIS2_EES4_S6_EETnPFT0_RKSA_EXadL_ZNS_18packed_silu_kernelIS3_EES4_S6_EELb0ELb1ELb0ELb1EEEvPS4_PS5_if: ; @_ZN4vllm18act_and_mul_kernelIN3c108BFloat16E15__hip_bfloat162TnPFT_RKS4_EXadL_ZNS_11silu_kernelIS2_EES4_S6_EETnPFT0_RKSA_EXadL_ZNS_18packed_silu_kernelIS3_EES4_S6_EELb0ELb1ELb0ELb1EEEvPS4_PS5_if
; %bb.0:
	s_add_u32 flat_scratch_lo, s6, s9
	s_load_dword s6, s[4:5], 0x10
	s_addc_u32 flat_scratch_hi, s7, 0
	s_add_u32 s0, s0, s9
	s_addc_u32 s1, s1, 0
	s_mov_b32 s32, 0
	s_waitcnt lgkmcnt(0)
	s_ashr_i32 s7, s6, 31
	s_lshr_b32 s7, s7, 28
	s_add_i32 s6, s6, s7
	s_ashr_i32 s6, s6, 4
	v_cmp_gt_i32_e32 vcc, s6, v0
	s_and_saveexec_b64 s[6:7], vcc
	s_cbranch_execz .LBB22_2
; %bb.1:
	s_add_u32 s8, s4, 24
	s_addc_u32 s9, s5, 0
	s_getpc_b64 s[4:5]
	s_add_u32 s4, s4, .str@rel32@lo+4
	s_addc_u32 s5, s5, .str@rel32@hi+12
	s_getpc_b64 s[6:7]
	s_add_u32 s6, s6, __PRETTY_FUNCTION__._ZN4vllm5ld256ERNS_7u32x8_tEPKS0_@rel32@lo+4
	s_addc_u32 s7, s7, __PRETTY_FUNCTION__._ZN4vllm5ld256ERNS_7u32x8_tEPKS0_@rel32@hi+12
	v_mov_b32_e32 v0, s4
	v_mov_b32_e32 v1, s5
	;; [unrolled: 1-line block ×5, first 2 shown]
	s_getpc_b64 s[10:11]
	s_add_u32 s10, s10, __assert_fail@rel32@lo+4
	s_addc_u32 s11, s11, __assert_fail@rel32@hi+12
	s_swappc_b64 s[30:31], s[10:11]
	; divergent unreachable
.LBB22_2:
	s_endpgm
	.section	.rodata,"a",@progbits
	.p2align	6, 0x0
	.amdhsa_kernel _ZN4vllm18act_and_mul_kernelIN3c108BFloat16E15__hip_bfloat162TnPFT_RKS4_EXadL_ZNS_11silu_kernelIS2_EES4_S6_EETnPFT0_RKSA_EXadL_ZNS_18packed_silu_kernelIS3_EES4_S6_EELb0ELb1ELb0ELb1EEEvPS4_PS5_if
		.amdhsa_group_segment_fixed_size 0
		.amdhsa_private_segment_fixed_size 64
		.amdhsa_kernarg_size 280
		.amdhsa_user_sgpr_count 8
		.amdhsa_user_sgpr_private_segment_buffer 1
		.amdhsa_user_sgpr_dispatch_ptr 0
		.amdhsa_user_sgpr_queue_ptr 0
		.amdhsa_user_sgpr_kernarg_segment_ptr 1
		.amdhsa_user_sgpr_dispatch_id 0
		.amdhsa_user_sgpr_flat_scratch_init 1
		.amdhsa_user_sgpr_kernarg_preload_length 0
		.amdhsa_user_sgpr_kernarg_preload_offset 0
		.amdhsa_user_sgpr_private_segment_size 0
		.amdhsa_uses_dynamic_stack 0
		.amdhsa_system_sgpr_private_segment_wavefront_offset 1
		.amdhsa_system_sgpr_workgroup_id_x 1
		.amdhsa_system_sgpr_workgroup_id_y 0
		.amdhsa_system_sgpr_workgroup_id_z 0
		.amdhsa_system_sgpr_workgroup_info 0
		.amdhsa_system_vgpr_workitem_id 0
		.amdhsa_next_free_vgpr 51
		.amdhsa_next_free_sgpr 34
		.amdhsa_accum_offset 52
		.amdhsa_reserve_vcc 1
		.amdhsa_reserve_flat_scratch 1
		.amdhsa_float_round_mode_32 0
		.amdhsa_float_round_mode_16_64 0
		.amdhsa_float_denorm_mode_32 3
		.amdhsa_float_denorm_mode_16_64 3
		.amdhsa_dx10_clamp 1
		.amdhsa_ieee_mode 1
		.amdhsa_fp16_overflow 0
		.amdhsa_tg_split 0
		.amdhsa_exception_fp_ieee_invalid_op 0
		.amdhsa_exception_fp_denorm_src 0
		.amdhsa_exception_fp_ieee_div_zero 0
		.amdhsa_exception_fp_ieee_overflow 0
		.amdhsa_exception_fp_ieee_underflow 0
		.amdhsa_exception_fp_ieee_inexact 0
		.amdhsa_exception_int_div_zero 0
	.end_amdhsa_kernel
	.section	.text._ZN4vllm18act_and_mul_kernelIN3c108BFloat16E15__hip_bfloat162TnPFT_RKS4_EXadL_ZNS_11silu_kernelIS2_EES4_S6_EETnPFT0_RKSA_EXadL_ZNS_18packed_silu_kernelIS3_EES4_S6_EELb0ELb1ELb0ELb1EEEvPS4_PS5_if,"axG",@progbits,_ZN4vllm18act_and_mul_kernelIN3c108BFloat16E15__hip_bfloat162TnPFT_RKS4_EXadL_ZNS_11silu_kernelIS2_EES4_S6_EETnPFT0_RKSA_EXadL_ZNS_18packed_silu_kernelIS3_EES4_S6_EELb0ELb1ELb0ELb1EEEvPS4_PS5_if,comdat
.Lfunc_end22:
	.size	_ZN4vllm18act_and_mul_kernelIN3c108BFloat16E15__hip_bfloat162TnPFT_RKS4_EXadL_ZNS_11silu_kernelIS2_EES4_S6_EETnPFT0_RKSA_EXadL_ZNS_18packed_silu_kernelIS3_EES4_S6_EELb0ELb1ELb0ELb1EEEvPS4_PS5_if, .Lfunc_end22-_ZN4vllm18act_and_mul_kernelIN3c108BFloat16E15__hip_bfloat162TnPFT_RKS4_EXadL_ZNS_11silu_kernelIS2_EES4_S6_EETnPFT0_RKSA_EXadL_ZNS_18packed_silu_kernelIS3_EES4_S6_EELb0ELb1ELb0ELb1EEEvPS4_PS5_if
                                        ; -- End function
	.section	.AMDGPU.csdata,"",@progbits
; Kernel info:
; codeLenInByte = 160
; NumSgprs: 40
; NumVgprs: 51
; NumAgprs: 0
; TotalNumVgprs: 51
; ScratchSize: 64
; MemoryBound: 0
; FloatMode: 240
; IeeeMode: 1
; LDSByteSize: 0 bytes/workgroup (compile time only)
; SGPRBlocks: 4
; VGPRBlocks: 6
; NumSGPRsForWavesPerEU: 40
; NumVGPRsForWavesPerEU: 51
; AccumOffset: 52
; Occupancy: 8
; WaveLimiterHint : 1
; COMPUTE_PGM_RSRC2:SCRATCH_EN: 1
; COMPUTE_PGM_RSRC2:USER_SGPR: 8
; COMPUTE_PGM_RSRC2:TRAP_HANDLER: 0
; COMPUTE_PGM_RSRC2:TGID_X_EN: 1
; COMPUTE_PGM_RSRC2:TGID_Y_EN: 0
; COMPUTE_PGM_RSRC2:TGID_Z_EN: 0
; COMPUTE_PGM_RSRC2:TIDIG_COMP_CNT: 0
; COMPUTE_PGM_RSRC3_GFX90A:ACCUM_OFFSET: 12
; COMPUTE_PGM_RSRC3_GFX90A:TG_SPLIT: 0
	.section	.text._ZN4vllm18act_and_mul_kernelIf15HIP_vector_typeIfLj2EETnPFT_RKS3_EXadL_ZNS_11silu_kernelIfEES3_S5_EETnPFT0_RKS9_EXadL_ZNS_18packed_silu_kernelIS2_EES3_S5_EELb0ELb1ELb0ELb0EEEvPS3_PS4_if,"axG",@progbits,_ZN4vllm18act_and_mul_kernelIf15HIP_vector_typeIfLj2EETnPFT_RKS3_EXadL_ZNS_11silu_kernelIfEES3_S5_EETnPFT0_RKS9_EXadL_ZNS_18packed_silu_kernelIS2_EES3_S5_EELb0ELb1ELb0ELb0EEEvPS3_PS4_if,comdat
	.protected	_ZN4vllm18act_and_mul_kernelIf15HIP_vector_typeIfLj2EETnPFT_RKS3_EXadL_ZNS_11silu_kernelIfEES3_S5_EETnPFT0_RKS9_EXadL_ZNS_18packed_silu_kernelIS2_EES3_S5_EELb0ELb1ELb0ELb0EEEvPS3_PS4_if ; -- Begin function _ZN4vllm18act_and_mul_kernelIf15HIP_vector_typeIfLj2EETnPFT_RKS3_EXadL_ZNS_11silu_kernelIfEES3_S5_EETnPFT0_RKS9_EXadL_ZNS_18packed_silu_kernelIS2_EES3_S5_EELb0ELb1ELb0ELb0EEEvPS3_PS4_if
	.globl	_ZN4vllm18act_and_mul_kernelIf15HIP_vector_typeIfLj2EETnPFT_RKS3_EXadL_ZNS_11silu_kernelIfEES3_S5_EETnPFT0_RKS9_EXadL_ZNS_18packed_silu_kernelIS2_EES3_S5_EELb0ELb1ELb0ELb0EEEvPS3_PS4_if
	.p2align	8
	.type	_ZN4vllm18act_and_mul_kernelIf15HIP_vector_typeIfLj2EETnPFT_RKS3_EXadL_ZNS_11silu_kernelIfEES3_S5_EETnPFT0_RKS9_EXadL_ZNS_18packed_silu_kernelIS2_EES3_S5_EELb0ELb1ELb0ELb0EEEvPS3_PS4_if,@function
_ZN4vllm18act_and_mul_kernelIf15HIP_vector_typeIfLj2EETnPFT_RKS3_EXadL_ZNS_11silu_kernelIfEES3_S5_EETnPFT0_RKS9_EXadL_ZNS_18packed_silu_kernelIS2_EES3_S5_EELb0ELb1ELb0ELb0EEEvPS3_PS4_if: ; @_ZN4vllm18act_and_mul_kernelIf15HIP_vector_typeIfLj2EETnPFT_RKS3_EXadL_ZNS_11silu_kernelIfEES3_S5_EETnPFT0_RKS9_EXadL_ZNS_18packed_silu_kernelIS2_EES3_S5_EELb0ELb1ELb0ELb0EEEvPS3_PS4_if
; %bb.0:
	s_load_dword s0, s[4:5], 0x10
	s_waitcnt lgkmcnt(0)
	s_ashr_i32 s1, s0, 31
	s_lshr_b32 s2, s1, 30
	s_add_i32 s2, s0, s2
	s_ashr_i32 s10, s2, 2
	v_cmp_gt_i32_e32 vcc, s10, v0
	s_and_saveexec_b64 s[2:3], vcc
	s_cbranch_execz .LBB23_3
; %bb.1:
	s_load_dwordx4 s[16:19], s[4:5], 0x0
	s_load_dword s7, s[4:5], 0x24
	s_mul_i32 s2, s6, s0
	s_lshl_b32 s4, s2, 1
	s_mov_b32 s5, 0
	s_mov_b32 s3, s5
	s_waitcnt lgkmcnt(0)
	s_and_b32 s11, s7, 0xffff
	s_lshl_b64 s[4:5], s[4:5], 2
	s_add_u32 s4, s18, s4
	v_lshlrev_b32_e32 v2, 4, v0
	s_addc_u32 s5, s19, s5
	v_mov_b32_e32 v3, s5
	v_add_co_u32_e32 v1, vcc, s4, v2
	v_addc_co_u32_e32 v6, vcc, 0, v3, vcc
	s_lshl_b64 s[0:1], s[0:1], 2
	s_lshl_b32 s12, s11, 4
	v_mov_b32_e32 v3, s1
	v_add_co_u32_e32 v7, vcc, s0, v1
	s_lshl_b64 s[0:1], s[2:3], 2
	s_add_u32 s0, s16, s0
	v_addc_co_u32_e32 v8, vcc, v6, v3, vcc
	s_addc_u32 s1, s17, s1
	v_mov_b32_e32 v3, s1
	v_add_co_u32_e32 v9, vcc, s0, v2
	v_addc_co_u32_e32 v10, vcc, 0, v3, vcc
	s_mov_b64 s[6:7], 0
	s_mov_b32 s13, 0xbfb8aa3b
	s_mov_b32 s14, 0x42ce8ed0
	s_mov_b32 s15, 0xc2b17218
	v_mov_b32_e32 v11, 0x7f800000
	s_mov_b64 s[8:9], 0
.LBB23_2:                               ; =>This Inner Loop Header: Depth=1
	v_mov_b32_e32 v5, s9
	v_add_co_u32_e32 v2, vcc, s8, v7
	v_add_co_u32_e64 v20, s[2:3], s8, v1
	v_addc_co_u32_e32 v3, vcc, v8, v5, vcc
	v_addc_co_u32_e64 v21, s[2:3], v6, v5, s[2:3]
	global_load_dwordx4 v[12:15], v[2:3], off
	global_load_dwordx4 v[16:19], v[20:21], off
	v_add_co_u32_e64 v4, s[0:1], s8, v9
	v_add_u32_e32 v0, s11, v0
	s_add_u32 s8, s8, s12
	v_addc_co_u32_e64 v5, vcc, v10, v5, s[0:1]
	s_addc_u32 s9, s9, 0
	v_cmp_le_i32_e32 vcc, s10, v0
	s_or_b64 s[6:7], vcc, s[6:7]
	s_waitcnt vmcnt(1)
	v_mul_f32_e32 v2, 0xbfb8aa3b, v12
	v_mul_f32_e32 v3, 0xbfb8aa3b, v13
	v_fma_f32 v22, v12, s13, -v2
	v_rndne_f32_e32 v23, v2
	v_mul_f32_e32 v20, 0xbfb8aa3b, v14
	v_fma_f32 v24, v13, s13, -v3
	v_rndne_f32_e32 v25, v3
	v_fmac_f32_e32 v22, 0xb2a5705f, v12
	v_sub_f32_e32 v2, v2, v23
	v_mul_f32_e32 v21, 0xbfb8aa3b, v15
	v_fma_f32 v26, v14, s13, -v20
	v_rndne_f32_e32 v27, v20
	v_fmac_f32_e32 v24, 0xb2a5705f, v13
	v_sub_f32_e32 v3, v3, v25
	v_add_f32_e32 v2, v2, v22
	v_fma_f32 v28, v15, s13, -v21
	v_rndne_f32_e32 v29, v21
	v_cvt_i32_f32_e32 v23, v23
	v_fmac_f32_e32 v26, 0xb2a5705f, v14
	v_sub_f32_e32 v20, v20, v27
	v_add_f32_e32 v3, v3, v24
	v_exp_f32_e32 v2, v2
	v_cvt_i32_f32_e32 v25, v25
	v_fmac_f32_e32 v28, 0xb2a5705f, v15
	v_sub_f32_e32 v21, v21, v29
	v_add_f32_e32 v20, v20, v26
	v_exp_f32_e32 v3, v3
	v_cvt_i32_f32_e32 v27, v27
	v_add_f32_e32 v21, v21, v28
	v_exp_f32_e32 v20, v20
	v_cvt_i32_f32_e32 v29, v29
	v_exp_f32_e32 v21, v21
	v_ldexp_f32 v2, v2, v23
	v_cmp_nlt_f32_e64 s[4:5], s14, v12
	v_ldexp_f32 v3, v3, v25
	v_cmp_nlt_f32_e32 vcc, s14, v13
	v_cndmask_b32_e64 v2, 0, v2, s[4:5]
	v_cmp_ngt_f32_e64 s[4:5], s15, v12
	v_ldexp_f32 v20, v20, v27
	v_cmp_nlt_f32_e64 s[0:1], s14, v14
	v_cndmask_b32_e32 v3, 0, v3, vcc
	v_cmp_ngt_f32_e32 vcc, s15, v13
	v_cndmask_b32_e64 v2, v11, v2, s[4:5]
	v_ldexp_f32 v21, v21, v29
	v_cmp_nlt_f32_e64 s[2:3], s14, v15
	v_cndmask_b32_e64 v20, 0, v20, s[0:1]
	v_cmp_ngt_f32_e64 s[0:1], s15, v14
	v_cndmask_b32_e32 v3, v11, v3, vcc
	v_add_f32_e32 v2, 1.0, v2
	v_cndmask_b32_e64 v21, 0, v21, s[2:3]
	v_cmp_ngt_f32_e64 s[2:3], s15, v15
	v_cndmask_b32_e64 v20, v11, v20, s[0:1]
	v_add_f32_e32 v3, 1.0, v3
	v_div_scale_f32 v22, s[0:1], v2, v2, v12
	v_cndmask_b32_e64 v21, v11, v21, s[2:3]
	v_add_f32_e32 v20, 1.0, v20
	v_div_scale_f32 v24, s[0:1], v3, v3, v13
	v_rcp_f32_e32 v30, v22
	v_add_f32_e32 v21, 1.0, v21
	v_div_scale_f32 v26, s[2:3], v20, v20, v14
	v_rcp_f32_e32 v31, v24
	v_div_scale_f32 v28, s[4:5], v21, v21, v15
	v_rcp_f32_e32 v32, v26
	v_rcp_f32_e32 v33, v28
	v_fma_f32 v34, -v22, v30, 1.0
	v_div_scale_f32 v23, vcc, v12, v2, v12
	v_fma_f32 v35, -v24, v31, 1.0
	v_fmac_f32_e32 v30, v34, v30
	v_div_scale_f32 v25, s[0:1], v13, v3, v13
	v_fma_f32 v36, -v26, v32, 1.0
	v_fmac_f32_e32 v31, v35, v31
	v_mul_f32_e32 v34, v23, v30
	v_div_scale_f32 v27, s[2:3], v14, v20, v14
	v_fma_f32 v37, -v28, v33, 1.0
	v_fmac_f32_e32 v32, v36, v32
	v_mul_f32_e32 v35, v25, v31
	v_fma_f32 v38, -v22, v34, v23
	v_div_scale_f32 v29, s[4:5], v15, v21, v15
	v_fmac_f32_e32 v33, v37, v33
	v_mul_f32_e32 v36, v27, v32
	v_fma_f32 v39, -v24, v35, v25
	v_fmac_f32_e32 v34, v38, v30
	v_mul_f32_e32 v37, v29, v33
	v_fma_f32 v40, -v26, v36, v27
	v_fmac_f32_e32 v35, v39, v31
	v_fma_f32 v22, -v22, v34, v23
	v_fma_f32 v41, -v28, v37, v29
	v_fmac_f32_e32 v36, v40, v32
	v_fma_f32 v23, -v24, v35, v25
	v_div_fmas_f32 v22, v22, v30, v34
	s_mov_b64 vcc, s[0:1]
	v_fmac_f32_e32 v37, v41, v33
	v_fma_f32 v24, -v26, v36, v27
	v_div_fixup_f32 v2, v22, v2, v12
	v_div_fmas_f32 v12, v23, v31, v35
	s_mov_b64 vcc, s[2:3]
	v_fma_f32 v25, -v28, v37, v29
	v_div_fixup_f32 v3, v12, v3, v13
	s_waitcnt vmcnt(0)
	v_mul_f32_e32 v12, v2, v16
	v_div_fmas_f32 v2, v24, v32, v36
	s_mov_b64 vcc, s[4:5]
	v_mul_f32_e32 v13, v3, v17
	v_div_fmas_f32 v3, v25, v33, v37
	v_div_fixup_f32 v2, v2, v20, v14
	v_div_fixup_f32 v3, v3, v21, v15
	v_mul_f32_e32 v14, v2, v18
	v_mul_f32_e32 v15, v3, v19
	global_store_dwordx4 v[4:5], v[12:15], off
	s_andn2_b64 exec, exec, s[6:7]
	s_cbranch_execnz .LBB23_2
.LBB23_3:
	s_endpgm
	.section	.rodata,"a",@progbits
	.p2align	6, 0x0
	.amdhsa_kernel _ZN4vllm18act_and_mul_kernelIf15HIP_vector_typeIfLj2EETnPFT_RKS3_EXadL_ZNS_11silu_kernelIfEES3_S5_EETnPFT0_RKS9_EXadL_ZNS_18packed_silu_kernelIS2_EES3_S5_EELb0ELb1ELb0ELb0EEEvPS3_PS4_if
		.amdhsa_group_segment_fixed_size 0
		.amdhsa_private_segment_fixed_size 0
		.amdhsa_kernarg_size 280
		.amdhsa_user_sgpr_count 6
		.amdhsa_user_sgpr_private_segment_buffer 1
		.amdhsa_user_sgpr_dispatch_ptr 0
		.amdhsa_user_sgpr_queue_ptr 0
		.amdhsa_user_sgpr_kernarg_segment_ptr 1
		.amdhsa_user_sgpr_dispatch_id 0
		.amdhsa_user_sgpr_flat_scratch_init 0
		.amdhsa_user_sgpr_kernarg_preload_length 0
		.amdhsa_user_sgpr_kernarg_preload_offset 0
		.amdhsa_user_sgpr_private_segment_size 0
		.amdhsa_uses_dynamic_stack 0
		.amdhsa_system_sgpr_private_segment_wavefront_offset 0
		.amdhsa_system_sgpr_workgroup_id_x 1
		.amdhsa_system_sgpr_workgroup_id_y 0
		.amdhsa_system_sgpr_workgroup_id_z 0
		.amdhsa_system_sgpr_workgroup_info 0
		.amdhsa_system_vgpr_workitem_id 0
		.amdhsa_next_free_vgpr 42
		.amdhsa_next_free_sgpr 20
		.amdhsa_accum_offset 44
		.amdhsa_reserve_vcc 1
		.amdhsa_reserve_flat_scratch 0
		.amdhsa_float_round_mode_32 0
		.amdhsa_float_round_mode_16_64 0
		.amdhsa_float_denorm_mode_32 3
		.amdhsa_float_denorm_mode_16_64 3
		.amdhsa_dx10_clamp 1
		.amdhsa_ieee_mode 1
		.amdhsa_fp16_overflow 0
		.amdhsa_tg_split 0
		.amdhsa_exception_fp_ieee_invalid_op 0
		.amdhsa_exception_fp_denorm_src 0
		.amdhsa_exception_fp_ieee_div_zero 0
		.amdhsa_exception_fp_ieee_overflow 0
		.amdhsa_exception_fp_ieee_underflow 0
		.amdhsa_exception_fp_ieee_inexact 0
		.amdhsa_exception_int_div_zero 0
	.end_amdhsa_kernel
	.section	.text._ZN4vllm18act_and_mul_kernelIf15HIP_vector_typeIfLj2EETnPFT_RKS3_EXadL_ZNS_11silu_kernelIfEES3_S5_EETnPFT0_RKS9_EXadL_ZNS_18packed_silu_kernelIS2_EES3_S5_EELb0ELb1ELb0ELb0EEEvPS3_PS4_if,"axG",@progbits,_ZN4vllm18act_and_mul_kernelIf15HIP_vector_typeIfLj2EETnPFT_RKS3_EXadL_ZNS_11silu_kernelIfEES3_S5_EETnPFT0_RKS9_EXadL_ZNS_18packed_silu_kernelIS2_EES3_S5_EELb0ELb1ELb0ELb0EEEvPS3_PS4_if,comdat
.Lfunc_end23:
	.size	_ZN4vllm18act_and_mul_kernelIf15HIP_vector_typeIfLj2EETnPFT_RKS3_EXadL_ZNS_11silu_kernelIfEES3_S5_EETnPFT0_RKS9_EXadL_ZNS_18packed_silu_kernelIS2_EES3_S5_EELb0ELb1ELb0ELb0EEEvPS3_PS4_if, .Lfunc_end23-_ZN4vllm18act_and_mul_kernelIf15HIP_vector_typeIfLj2EETnPFT_RKS3_EXadL_ZNS_11silu_kernelIfEES3_S5_EETnPFT0_RKS9_EXadL_ZNS_18packed_silu_kernelIS2_EES3_S5_EELb0ELb1ELb0ELb0EEEvPS3_PS4_if
                                        ; -- End function
	.section	.AMDGPU.csdata,"",@progbits
; Kernel info:
; codeLenInByte = 956
; NumSgprs: 24
; NumVgprs: 42
; NumAgprs: 0
; TotalNumVgprs: 42
; ScratchSize: 0
; MemoryBound: 0
; FloatMode: 240
; IeeeMode: 1
; LDSByteSize: 0 bytes/workgroup (compile time only)
; SGPRBlocks: 2
; VGPRBlocks: 5
; NumSGPRsForWavesPerEU: 24
; NumVGPRsForWavesPerEU: 42
; AccumOffset: 44
; Occupancy: 8
; WaveLimiterHint : 0
; COMPUTE_PGM_RSRC2:SCRATCH_EN: 0
; COMPUTE_PGM_RSRC2:USER_SGPR: 6
; COMPUTE_PGM_RSRC2:TRAP_HANDLER: 0
; COMPUTE_PGM_RSRC2:TGID_X_EN: 1
; COMPUTE_PGM_RSRC2:TGID_Y_EN: 0
; COMPUTE_PGM_RSRC2:TGID_Z_EN: 0
; COMPUTE_PGM_RSRC2:TIDIG_COMP_CNT: 0
; COMPUTE_PGM_RSRC3_GFX90A:ACCUM_OFFSET: 10
; COMPUTE_PGM_RSRC3_GFX90A:TG_SPLIT: 0
	.section	.text._ZN4vllm18act_and_mul_kernelIN3c104HalfE7__half2TnPFT_RKS4_EXadL_ZNS_11silu_kernelIS2_EES4_S6_EETnPFT0_RKSA_EXadL_ZNS_18packed_silu_kernelIS3_EES4_S6_EELb0ELb1ELb0ELb0EEEvPS4_PS5_if,"axG",@progbits,_ZN4vllm18act_and_mul_kernelIN3c104HalfE7__half2TnPFT_RKS4_EXadL_ZNS_11silu_kernelIS2_EES4_S6_EETnPFT0_RKSA_EXadL_ZNS_18packed_silu_kernelIS3_EES4_S6_EELb0ELb1ELb0ELb0EEEvPS4_PS5_if,comdat
	.protected	_ZN4vllm18act_and_mul_kernelIN3c104HalfE7__half2TnPFT_RKS4_EXadL_ZNS_11silu_kernelIS2_EES4_S6_EETnPFT0_RKSA_EXadL_ZNS_18packed_silu_kernelIS3_EES4_S6_EELb0ELb1ELb0ELb0EEEvPS4_PS5_if ; -- Begin function _ZN4vllm18act_and_mul_kernelIN3c104HalfE7__half2TnPFT_RKS4_EXadL_ZNS_11silu_kernelIS2_EES4_S6_EETnPFT0_RKSA_EXadL_ZNS_18packed_silu_kernelIS3_EES4_S6_EELb0ELb1ELb0ELb0EEEvPS4_PS5_if
	.globl	_ZN4vllm18act_and_mul_kernelIN3c104HalfE7__half2TnPFT_RKS4_EXadL_ZNS_11silu_kernelIS2_EES4_S6_EETnPFT0_RKSA_EXadL_ZNS_18packed_silu_kernelIS3_EES4_S6_EELb0ELb1ELb0ELb0EEEvPS4_PS5_if
	.p2align	8
	.type	_ZN4vllm18act_and_mul_kernelIN3c104HalfE7__half2TnPFT_RKS4_EXadL_ZNS_11silu_kernelIS2_EES4_S6_EETnPFT0_RKSA_EXadL_ZNS_18packed_silu_kernelIS3_EES4_S6_EELb0ELb1ELb0ELb0EEEvPS4_PS5_if,@function
_ZN4vllm18act_and_mul_kernelIN3c104HalfE7__half2TnPFT_RKS4_EXadL_ZNS_11silu_kernelIS2_EES4_S6_EETnPFT0_RKSA_EXadL_ZNS_18packed_silu_kernelIS3_EES4_S6_EELb0ELb1ELb0ELb0EEEvPS4_PS5_if: ; @_ZN4vllm18act_and_mul_kernelIN3c104HalfE7__half2TnPFT_RKS4_EXadL_ZNS_11silu_kernelIS2_EES4_S6_EETnPFT0_RKSA_EXadL_ZNS_18packed_silu_kernelIS3_EES4_S6_EELb0ELb1ELb0ELb0EEEvPS4_PS5_if
; %bb.0:
	s_load_dword s0, s[4:5], 0x10
	s_waitcnt lgkmcnt(0)
	s_ashr_i32 s1, s0, 31
	s_lshr_b32 s2, s1, 29
	s_add_i32 s2, s0, s2
	s_ashr_i32 s20, s2, 3
	v_cmp_gt_i32_e32 vcc, s20, v0
	s_and_saveexec_b64 s[2:3], vcc
	s_cbranch_execz .LBB24_3
; %bb.1:
	s_load_dwordx4 s[8:11], s[4:5], 0x0
	s_load_dword s7, s[4:5], 0x24
	s_mul_i32 s2, s6, s0
	s_lshl_b32 s4, s2, 1
	s_mov_b32 s5, 0
	s_mov_b32 s3, s5
	s_waitcnt lgkmcnt(0)
	s_and_b32 s21, s7, 0xffff
	s_lshl_b64 s[4:5], s[4:5], 1
	s_add_u32 s4, s10, s4
	v_lshlrev_b32_e32 v2, 4, v0
	s_addc_u32 s5, s11, s5
	v_mov_b32_e32 v3, s5
	v_add_co_u32_e32 v1, vcc, s4, v2
	v_addc_co_u32_e32 v8, vcc, 0, v3, vcc
	s_lshl_b64 s[0:1], s[0:1], 1
	s_lshl_b32 s22, s21, 4
	v_mov_b32_e32 v3, s1
	v_add_co_u32_e32 v9, vcc, s0, v1
	s_lshl_b64 s[0:1], s[2:3], 1
	s_add_u32 s0, s8, s0
	v_addc_co_u32_e32 v10, vcc, v8, v3, vcc
	s_addc_u32 s1, s9, s1
	v_mov_b32_e32 v3, s1
	v_add_co_u32_e32 v11, vcc, s0, v2
	v_addc_co_u32_e32 v12, vcc, 0, v3, vcc
	s_mov_b64 s[16:17], 0
	s_mov_b32 s23, 0xbfb8aa3b
	s_mov_b32 s24, 0xb2a5705f
	;; [unrolled: 1-line block ×4, first 2 shown]
	v_mov_b32_e32 v13, 0x7f800000
	s_mov_b64 s[18:19], 0
.LBB24_2:                               ; =>This Inner Loop Header: Depth=1
	v_mov_b32_e32 v5, s19
	v_add_co_u32_e32 v2, vcc, s18, v9
	v_addc_co_u32_e32 v3, vcc, v10, v5, vcc
	global_load_dwordx4 v[14:17], v[2:3], off
	v_add_co_u32_e64 v4, s[0:1], s18, v11
	v_add_co_u32_e64 v6, s[2:3], s18, v1
	v_addc_co_u32_e64 v7, s[2:3], v8, v5, s[2:3]
	v_addc_co_u32_e64 v5, vcc, v12, v5, s[0:1]
	v_add_u32_e32 v0, s21, v0
	s_add_u32 s18, s18, s22
	s_addc_u32 s19, s19, 0
	v_cmp_le_i32_e64 s[14:15], s20, v0
	s_or_b64 s[16:17], s[14:15], s[16:17]
	s_waitcnt vmcnt(0)
	v_cvt_f32_f16_sdwa v24, v14 dst_sel:DWORD dst_unused:UNUSED_PAD src0_sel:WORD_1
	v_cvt_f32_f16_e32 v25, v14
	v_cvt_f32_f16_sdwa v26, v15 dst_sel:DWORD dst_unused:UNUSED_PAD src0_sel:WORD_1
	v_cvt_f32_f16_e32 v27, v15
	;; [unrolled: 2-line block ×4, first 2 shown]
	v_mul_f32_e32 v2, 0xbfb8aa3b, v25
	v_mul_f32_e32 v3, 0xbfb8aa3b, v24
	;; [unrolled: 1-line block ×4, first 2 shown]
	v_fma_mix_f32 v32, v14, s23, -v2 op_sel_hi:[1,0,0]
	v_rndne_f32_e32 v33, v2
	v_fma_mix_f32 v34, v14, s23, -v3 op_sel:[1,0,0] op_sel_hi:[1,0,0]
	v_rndne_f32_e32 v35, v3
	v_mul_f32_e32 v20, 0xbfb8aa3b, v29
	v_mul_f32_e32 v21, 0xbfb8aa3b, v28
	;; [unrolled: 1-line block ×4, first 2 shown]
	v_fma_mix_f32 v36, v15, s23, -v18 op_sel_hi:[1,0,0]
	v_rndne_f32_e32 v37, v18
	v_fma_mix_f32 v38, v15, s23, -v19 op_sel:[1,0,0] op_sel_hi:[1,0,0]
	v_rndne_f32_e32 v39, v19
	v_fma_mix_f32 v32, v14, s24, v32 op_sel_hi:[1,0,0]
	v_sub_f32_e32 v2, v2, v33
	v_fma_mix_f32 v14, v14, s24, v34 op_sel:[1,0,0] op_sel_hi:[1,0,0]
	v_sub_f32_e32 v3, v3, v35
	v_fma_mix_f32 v40, v16, s23, -v20 op_sel_hi:[1,0,0]
	v_rndne_f32_e32 v41, v20
	v_fma_mix_f32 v42, v16, s23, -v21 op_sel:[1,0,0] op_sel_hi:[1,0,0]
	v_rndne_f32_e32 v43, v21
	v_fma_mix_f32 v44, v17, s23, -v22 op_sel_hi:[1,0,0]
	v_rndne_f32_e32 v45, v22
	v_fma_mix_f32 v46, v17, s23, -v23 op_sel:[1,0,0] op_sel_hi:[1,0,0]
	v_rndne_f32_e32 v47, v23
	v_cvt_i32_f32_e32 v34, v35
	v_fma_mix_f32 v35, v15, s24, v36 op_sel_hi:[1,0,0]
	v_sub_f32_e32 v18, v18, v37
	v_fma_mix_f32 v15, v15, s24, v38 op_sel:[1,0,0] op_sel_hi:[1,0,0]
	v_sub_f32_e32 v19, v19, v39
	v_add_f32_e32 v2, v2, v32
	v_add_f32_e32 v3, v3, v14
	v_cvt_i32_f32_e32 v33, v33
	v_cvt_i32_f32_e32 v36, v37
	;; [unrolled: 1-line block ×3, first 2 shown]
	v_fma_mix_f32 v38, v16, s24, v40 op_sel_hi:[1,0,0]
	v_sub_f32_e32 v20, v20, v41
	v_cvt_i32_f32_e32 v39, v41
	v_fma_mix_f32 v16, v16, s24, v42 op_sel:[1,0,0] op_sel_hi:[1,0,0]
	v_sub_f32_e32 v21, v21, v43
	v_fma_mix_f32 v41, v17, s24, v44 op_sel_hi:[1,0,0]
	v_sub_f32_e32 v22, v22, v45
	v_fma_mix_f32 v17, v17, s24, v46 op_sel:[1,0,0] op_sel_hi:[1,0,0]
	v_sub_f32_e32 v23, v23, v47
	v_add_f32_e32 v14, v18, v35
	v_add_f32_e32 v15, v19, v15
	v_exp_f32_e32 v2, v2
	v_exp_f32_e32 v3, v3
	v_add_f32_e32 v18, v20, v38
	v_add_f32_e32 v16, v21, v16
	v_add_f32_e32 v19, v22, v41
	v_add_f32_e32 v17, v23, v17
	v_exp_f32_e32 v14, v14
	v_exp_f32_e32 v15, v15
	v_cvt_i32_f32_e32 v40, v43
	v_cvt_i32_f32_e32 v42, v45
	;; [unrolled: 1-line block ×3, first 2 shown]
	v_exp_f32_e32 v18, v18
	v_exp_f32_e32 v16, v16
	;; [unrolled: 1-line block ×4, first 2 shown]
	v_ldexp_f32 v2, v2, v33
	v_ldexp_f32 v3, v3, v34
	v_cmp_nlt_f32_e32 vcc, s25, v24
	v_cmp_nlt_f32_e64 s[12:13], s25, v25
	v_ldexp_f32 v14, v14, v36
	v_cmp_nlt_f32_e64 s[0:1], s25, v27
	v_ldexp_f32 v15, v15, v37
	v_cmp_nlt_f32_e64 s[2:3], s25, v26
	v_cndmask_b32_e64 v2, 0, v2, s[12:13]
	v_cndmask_b32_e32 v3, 0, v3, vcc
	v_cmp_ngt_f32_e32 vcc, s26, v24
	v_cmp_ngt_f32_e64 s[12:13], s26, v25
	v_ldexp_f32 v18, v18, v39
	v_cmp_nlt_f32_e64 s[4:5], s25, v29
	v_ldexp_f32 v16, v16, v40
	v_cmp_nlt_f32_e64 s[6:7], s25, v28
	;; [unrolled: 2-line block ×4, first 2 shown]
	v_cndmask_b32_e64 v14, 0, v14, s[0:1]
	v_cmp_ngt_f32_e64 s[0:1], s26, v27
	v_cndmask_b32_e64 v15, 0, v15, s[2:3]
	v_cmp_ngt_f32_e64 s[2:3], s26, v26
	v_cndmask_b32_e64 v2, v13, v2, s[12:13]
	v_cndmask_b32_e32 v3, v13, v3, vcc
	v_cndmask_b32_e64 v18, 0, v18, s[4:5]
	v_cmp_ngt_f32_e64 s[4:5], s26, v29
	v_cndmask_b32_e64 v20, 0, v16, s[6:7]
	v_cmp_ngt_f32_e64 s[6:7], s26, v28
	;; [unrolled: 2-line block ×4, first 2 shown]
	v_cndmask_b32_e64 v14, v13, v14, s[0:1]
	v_cndmask_b32_e64 v15, v13, v15, s[2:3]
	v_pk_add_f32 v[2:3], v[2:3], 1.0 op_sel_hi:[1,0]
	v_cndmask_b32_e64 v16, v13, v18, s[4:5]
	v_cndmask_b32_e64 v17, v13, v20, s[6:7]
	;; [unrolled: 1-line block ×4, first 2 shown]
	v_pk_add_f32 v[20:21], v[14:15], 1.0 op_sel_hi:[1,0]
	v_div_scale_f32 v14, s[0:1], v2, v2, v25
	v_pk_add_f32 v[22:23], v[16:17], 1.0 op_sel_hi:[1,0]
	v_pk_add_f32 v[18:19], v[18:19], 1.0 op_sel_hi:[1,0]
	v_div_scale_f32 v16, s[0:1], v3, v3, v24
	v_rcp_f32_e32 v44, v14
	v_div_scale_f32 v32, s[0:1], v20, v20, v27
	v_div_scale_f32 v42, s[0:1], v19, v19, v30
	v_rcp_f32_e32 v45, v16
	v_div_scale_f32 v34, s[0:1], v21, v21, v26
	v_rcp_f32_e32 v46, v32
	v_rcp_f32_e32 v51, v42
	v_div_scale_f32 v36, s[0:1], v22, v22, v29
	v_rcp_f32_e32 v47, v34
	v_div_scale_f32 v38, s[0:1], v23, v23, v28
	v_rcp_f32_e32 v48, v36
	v_fma_f32 v52, -v14, v44, 1.0
	v_div_scale_f32 v15, vcc, v25, v2, v25
	v_div_scale_f32 v40, s[0:1], v18, v18, v31
	v_rcp_f32_e32 v49, v38
	v_fma_f32 v53, -v16, v45, 1.0
	v_fmac_f32_e32 v44, v52, v44
	v_div_scale_f32 v17, s[2:3], v24, v3, v24
	v_rcp_f32_e32 v50, v40
	v_fma_f32 v54, -v32, v46, 1.0
	v_fma_f32 v59, -v42, v51, 1.0
	v_fmac_f32_e32 v45, v53, v45
	v_mul_f32_e32 v52, v15, v44
	v_div_scale_f32 v33, s[4:5], v27, v20, v27
	v_fma_f32 v55, -v34, v47, 1.0
	v_fmac_f32_e32 v46, v54, v46
	v_fmac_f32_e32 v51, v59, v51
	v_mul_f32_e32 v53, v17, v45
	v_fma_f32 v59, -v14, v52, v15
	v_div_scale_f32 v35, s[6:7], v26, v21, v26
	v_fma_f32 v56, -v36, v48, 1.0
	v_fmac_f32_e32 v47, v55, v47
	v_mul_f32_e32 v54, v33, v46
	v_fmac_f32_e32 v52, v59, v44
	v_fma_f32 v59, -v16, v53, v17
	v_div_scale_f32 v37, s[8:9], v29, v22, v29
	v_fma_f32 v57, -v38, v49, 1.0
	v_fmac_f32_e32 v48, v56, v48
	v_mul_f32_e32 v55, v35, v47
	v_fmac_f32_e32 v53, v59, v45
	v_fma_f32 v59, -v32, v54, v33
	v_div_scale_f32 v39, s[10:11], v28, v23, v28
	v_fma_f32 v58, -v40, v50, 1.0
	v_fmac_f32_e32 v49, v57, v49
	v_mul_f32_e32 v56, v37, v48
	v_fmac_f32_e32 v54, v59, v46
	v_fma_f32 v59, -v34, v55, v35
	v_div_scale_f32 v41, s[12:13], v31, v18, v31
	v_fmac_f32_e32 v50, v58, v50
	v_mul_f32_e32 v57, v39, v49
	v_fmac_f32_e32 v55, v59, v47
	v_fma_f32 v59, -v36, v56, v37
	v_mul_f32_e32 v58, v41, v50
	v_fmac_f32_e32 v56, v59, v48
	v_fma_f32 v59, -v38, v57, v39
	v_div_scale_f32 v43, s[0:1], v30, v19, v30
	v_fmac_f32_e32 v57, v59, v49
	v_fma_f32 v59, -v40, v58, v41
	v_fmac_f32_e32 v58, v59, v50
	v_mul_f32_e32 v59, v43, v51
	v_fma_f32 v60, -v42, v59, v43
	v_fmac_f32_e32 v59, v60, v51
	v_fma_f32 v60, -v14, v52, v15
	v_fma_f32 v61, -v16, v53, v17
	global_load_dwordx4 v[14:17], v[6:7], off
	v_fma_f32 v6, -v32, v54, v33
	v_fma_f32 v32, -v36, v56, v37
	v_div_fmas_f32 v36, v60, v44, v52
	s_mov_b64 vcc, s[2:3]
	v_div_fixup_f32 v2, v36, v2, v25
	v_div_fmas_f32 v25, v61, v45, v53
	s_mov_b64 vcc, s[4:5]
	v_fma_f32 v7, -v34, v55, v35
	v_div_fixup_f32 v3, v25, v3, v24
	v_div_fmas_f32 v6, v6, v46, v54
	s_mov_b64 vcc, s[6:7]
	v_cvt_f16_f32_e32 v2, v2
	v_cvt_f16_f32_e32 v3, v3
	v_div_fmas_f32 v7, v7, v47, v55
	s_mov_b64 vcc, s[8:9]
	v_fma_f32 v33, -v38, v57, v39
	v_div_fixup_f32 v6, v6, v20, v27
	v_div_fmas_f32 v20, v32, v48, v56
	s_mov_b64 vcc, s[10:11]
	v_fma_f32 v34, -v40, v58, v41
	v_div_fixup_f32 v7, v7, v21, v26
	;; [unrolled: 4-line block ×3, first 2 shown]
	v_div_fixup_f32 v21, v21, v23, v28
	v_div_fmas_f32 v22, v34, v50, v58
	s_mov_b64 vcc, s[0:1]
	v_pack_b32_f16 v2, v2, v3
	v_cvt_f16_f32_e32 v3, v21
	v_div_fmas_f32 v21, v35, v51, v59
	v_div_fixup_f32 v18, v22, v18, v31
	v_cvt_f16_f32_e32 v6, v6
	v_cvt_f16_f32_e32 v7, v7
	;; [unrolled: 1-line block ×4, first 2 shown]
	v_pack_b32_f16 v6, v6, v7
	v_pack_b32_f16 v3, v20, v3
	s_waitcnt vmcnt(0)
	v_pk_mul_f16 v14, v2, v14
	v_div_fixup_f32 v2, v21, v19, v30
	v_cvt_f16_f32_e32 v2, v2
	v_pk_mul_f16 v15, v6, v15
	v_pk_mul_f16 v16, v3, v16
	v_pack_b32_f16 v2, v18, v2
	v_pk_mul_f16 v17, v2, v17
	global_store_dwordx4 v[4:5], v[14:17], off
	s_andn2_b64 exec, exec, s[16:17]
	s_cbranch_execnz .LBB24_2
.LBB24_3:
	s_endpgm
	.section	.rodata,"a",@progbits
	.p2align	6, 0x0
	.amdhsa_kernel _ZN4vllm18act_and_mul_kernelIN3c104HalfE7__half2TnPFT_RKS4_EXadL_ZNS_11silu_kernelIS2_EES4_S6_EETnPFT0_RKSA_EXadL_ZNS_18packed_silu_kernelIS3_EES4_S6_EELb0ELb1ELb0ELb0EEEvPS4_PS5_if
		.amdhsa_group_segment_fixed_size 0
		.amdhsa_private_segment_fixed_size 0
		.amdhsa_kernarg_size 280
		.amdhsa_user_sgpr_count 6
		.amdhsa_user_sgpr_private_segment_buffer 1
		.amdhsa_user_sgpr_dispatch_ptr 0
		.amdhsa_user_sgpr_queue_ptr 0
		.amdhsa_user_sgpr_kernarg_segment_ptr 1
		.amdhsa_user_sgpr_dispatch_id 0
		.amdhsa_user_sgpr_flat_scratch_init 0
		.amdhsa_user_sgpr_kernarg_preload_length 0
		.amdhsa_user_sgpr_kernarg_preload_offset 0
		.amdhsa_user_sgpr_private_segment_size 0
		.amdhsa_uses_dynamic_stack 0
		.amdhsa_system_sgpr_private_segment_wavefront_offset 0
		.amdhsa_system_sgpr_workgroup_id_x 1
		.amdhsa_system_sgpr_workgroup_id_y 0
		.amdhsa_system_sgpr_workgroup_id_z 0
		.amdhsa_system_sgpr_workgroup_info 0
		.amdhsa_system_vgpr_workitem_id 0
		.amdhsa_next_free_vgpr 62
		.amdhsa_next_free_sgpr 27
		.amdhsa_accum_offset 64
		.amdhsa_reserve_vcc 1
		.amdhsa_reserve_flat_scratch 0
		.amdhsa_float_round_mode_32 0
		.amdhsa_float_round_mode_16_64 0
		.amdhsa_float_denorm_mode_32 3
		.amdhsa_float_denorm_mode_16_64 3
		.amdhsa_dx10_clamp 1
		.amdhsa_ieee_mode 1
		.amdhsa_fp16_overflow 0
		.amdhsa_tg_split 0
		.amdhsa_exception_fp_ieee_invalid_op 0
		.amdhsa_exception_fp_denorm_src 0
		.amdhsa_exception_fp_ieee_div_zero 0
		.amdhsa_exception_fp_ieee_overflow 0
		.amdhsa_exception_fp_ieee_underflow 0
		.amdhsa_exception_fp_ieee_inexact 0
		.amdhsa_exception_int_div_zero 0
	.end_amdhsa_kernel
	.section	.text._ZN4vllm18act_and_mul_kernelIN3c104HalfE7__half2TnPFT_RKS4_EXadL_ZNS_11silu_kernelIS2_EES4_S6_EETnPFT0_RKSA_EXadL_ZNS_18packed_silu_kernelIS3_EES4_S6_EELb0ELb1ELb0ELb0EEEvPS4_PS5_if,"axG",@progbits,_ZN4vllm18act_and_mul_kernelIN3c104HalfE7__half2TnPFT_RKS4_EXadL_ZNS_11silu_kernelIS2_EES4_S6_EETnPFT0_RKSA_EXadL_ZNS_18packed_silu_kernelIS3_EES4_S6_EELb0ELb1ELb0ELb0EEEvPS4_PS5_if,comdat
.Lfunc_end24:
	.size	_ZN4vllm18act_and_mul_kernelIN3c104HalfE7__half2TnPFT_RKS4_EXadL_ZNS_11silu_kernelIS2_EES4_S6_EETnPFT0_RKSA_EXadL_ZNS_18packed_silu_kernelIS3_EES4_S6_EELb0ELb1ELb0ELb0EEEvPS4_PS5_if, .Lfunc_end24-_ZN4vllm18act_and_mul_kernelIN3c104HalfE7__half2TnPFT_RKS4_EXadL_ZNS_11silu_kernelIS2_EES4_S6_EETnPFT0_RKSA_EXadL_ZNS_18packed_silu_kernelIS3_EES4_S6_EELb0ELb1ELb0ELb0EEEvPS4_PS5_if
                                        ; -- End function
	.section	.AMDGPU.csdata,"",@progbits
; Kernel info:
; codeLenInByte = 1752
; NumSgprs: 31
; NumVgprs: 62
; NumAgprs: 0
; TotalNumVgprs: 62
; ScratchSize: 0
; MemoryBound: 0
; FloatMode: 240
; IeeeMode: 1
; LDSByteSize: 0 bytes/workgroup (compile time only)
; SGPRBlocks: 3
; VGPRBlocks: 7
; NumSGPRsForWavesPerEU: 31
; NumVGPRsForWavesPerEU: 62
; AccumOffset: 64
; Occupancy: 8
; WaveLimiterHint : 0
; COMPUTE_PGM_RSRC2:SCRATCH_EN: 0
; COMPUTE_PGM_RSRC2:USER_SGPR: 6
; COMPUTE_PGM_RSRC2:TRAP_HANDLER: 0
; COMPUTE_PGM_RSRC2:TGID_X_EN: 1
; COMPUTE_PGM_RSRC2:TGID_Y_EN: 0
; COMPUTE_PGM_RSRC2:TGID_Z_EN: 0
; COMPUTE_PGM_RSRC2:TIDIG_COMP_CNT: 0
; COMPUTE_PGM_RSRC3_GFX90A:ACCUM_OFFSET: 15
; COMPUTE_PGM_RSRC3_GFX90A:TG_SPLIT: 0
	.section	.text._ZN4vllm18act_and_mul_kernelIN3c108BFloat16E15__hip_bfloat162TnPFT_RKS4_EXadL_ZNS_11silu_kernelIS2_EES4_S6_EETnPFT0_RKSA_EXadL_ZNS_18packed_silu_kernelIS3_EES4_S6_EELb0ELb1ELb0ELb0EEEvPS4_PS5_if,"axG",@progbits,_ZN4vllm18act_and_mul_kernelIN3c108BFloat16E15__hip_bfloat162TnPFT_RKS4_EXadL_ZNS_11silu_kernelIS2_EES4_S6_EETnPFT0_RKSA_EXadL_ZNS_18packed_silu_kernelIS3_EES4_S6_EELb0ELb1ELb0ELb0EEEvPS4_PS5_if,comdat
	.protected	_ZN4vllm18act_and_mul_kernelIN3c108BFloat16E15__hip_bfloat162TnPFT_RKS4_EXadL_ZNS_11silu_kernelIS2_EES4_S6_EETnPFT0_RKSA_EXadL_ZNS_18packed_silu_kernelIS3_EES4_S6_EELb0ELb1ELb0ELb0EEEvPS4_PS5_if ; -- Begin function _ZN4vllm18act_and_mul_kernelIN3c108BFloat16E15__hip_bfloat162TnPFT_RKS4_EXadL_ZNS_11silu_kernelIS2_EES4_S6_EETnPFT0_RKSA_EXadL_ZNS_18packed_silu_kernelIS3_EES4_S6_EELb0ELb1ELb0ELb0EEEvPS4_PS5_if
	.globl	_ZN4vllm18act_and_mul_kernelIN3c108BFloat16E15__hip_bfloat162TnPFT_RKS4_EXadL_ZNS_11silu_kernelIS2_EES4_S6_EETnPFT0_RKSA_EXadL_ZNS_18packed_silu_kernelIS3_EES4_S6_EELb0ELb1ELb0ELb0EEEvPS4_PS5_if
	.p2align	8
	.type	_ZN4vllm18act_and_mul_kernelIN3c108BFloat16E15__hip_bfloat162TnPFT_RKS4_EXadL_ZNS_11silu_kernelIS2_EES4_S6_EETnPFT0_RKSA_EXadL_ZNS_18packed_silu_kernelIS3_EES4_S6_EELb0ELb1ELb0ELb0EEEvPS4_PS5_if,@function
_ZN4vllm18act_and_mul_kernelIN3c108BFloat16E15__hip_bfloat162TnPFT_RKS4_EXadL_ZNS_11silu_kernelIS2_EES4_S6_EETnPFT0_RKSA_EXadL_ZNS_18packed_silu_kernelIS3_EES4_S6_EELb0ELb1ELb0ELb0EEEvPS4_PS5_if: ; @_ZN4vllm18act_and_mul_kernelIN3c108BFloat16E15__hip_bfloat162TnPFT_RKS4_EXadL_ZNS_11silu_kernelIS2_EES4_S6_EETnPFT0_RKSA_EXadL_ZNS_18packed_silu_kernelIS3_EES4_S6_EELb0ELb1ELb0ELb0EEEvPS4_PS5_if
; %bb.0:
	s_load_dword s0, s[4:5], 0x10
	s_waitcnt lgkmcnt(0)
	s_ashr_i32 s1, s0, 31
	s_lshr_b32 s2, s1, 29
	s_add_i32 s2, s0, s2
	s_ashr_i32 s7, s2, 3
	v_cmp_gt_i32_e32 vcc, s7, v0
	s_and_saveexec_b64 s[2:3], vcc
	s_cbranch_execz .LBB25_67
; %bb.1:
	s_load_dwordx4 s[12:15], s[4:5], 0x0
	s_load_dword s8, s[4:5], 0x24
	s_mul_i32 s2, s6, s0
	s_lshl_b32 s4, s2, 1
	s_mov_b32 s5, 0
	s_mov_b32 s3, s5
	s_waitcnt lgkmcnt(0)
	s_and_b32 s6, s8, 0xffff
	s_lshl_b64 s[4:5], s[4:5], 1
	s_add_u32 s4, s14, s4
	v_lshlrev_b32_e32 v2, 4, v0
	s_addc_u32 s5, s15, s5
	v_mov_b32_e32 v3, s5
	v_add_co_u32_e32 v1, vcc, s4, v2
	v_addc_co_u32_e32 v10, vcc, 0, v3, vcc
	s_lshl_b64 s[0:1], s[0:1], 1
	s_lshl_b32 s8, s6, 4
	v_mov_b32_e32 v3, s1
	v_add_co_u32_e32 v11, vcc, s0, v1
	s_lshl_b64 s[0:1], s[2:3], 1
	s_add_u32 s0, s12, s0
	v_addc_co_u32_e32 v12, vcc, v10, v3, vcc
	s_addc_u32 s1, s13, s1
	v_mov_b32_e32 v3, s1
	v_add_co_u32_e32 v13, vcc, s0, v2
	v_addc_co_u32_e32 v14, vcc, 0, v3, vcc
	s_mov_b64 s[0:1], 0
	s_mov_b32 s9, 0xbfb8aa3b
	s_mov_b32 s10, 0x42ce8ed0
	;; [unrolled: 1-line block ×4, first 2 shown]
	v_mov_b32_e32 v15, 0x7f800000
	s_movk_i32 s13, 0x7fff
	s_mov_b32 s14, 0x7060302
	v_mov_b32_e32 v16, 0
	s_mov_b64 s[2:3], 0
	s_branch .LBB25_3
.LBB25_2:                               ;   in Loop: Header=BB25_3 Depth=1
	s_or_b64 exec, exec, s[4:5]
	v_perm_b32 v3, v3, v7, s14
	v_perm_b32 v2, v2, v6, s14
	v_mov_b32_e32 v7, s3
	v_add_co_u32_e32 v6, vcc, s2, v13
	v_addc_co_u32_e32 v7, vcc, v14, v7, vcc
	v_add_u32_e32 v0, s6, v0
	s_add_u32 s2, s2, s8
	s_addc_u32 s3, s3, 0
	v_cmp_le_i32_e32 vcc, s7, v0
	v_perm_b32 v5, v9, v17, s14
	v_perm_b32 v4, v4, v8, s14
	s_or_b64 s[0:1], vcc, s[0:1]
	global_store_dwordx4 v[6:7], v[2:5], off
	s_andn2_b64 exec, exec, s[0:1]
	s_cbranch_execz .LBB25_67
.LBB25_3:                               ; =>This Inner Loop Header: Depth=1
	v_mov_b32_e32 v4, s3
	v_add_co_u32_e32 v2, vcc, s2, v11
	v_addc_co_u32_e32 v3, vcc, v12, v4, vcc
	global_load_dwordx4 v[6:9], v[2:3], off
	v_add_co_u32_e32 v2, vcc, s2, v1
	v_addc_co_u32_e32 v3, vcc, v10, v4, vcc
	global_load_dwordx4 v[2:5], v[2:3], off
	s_waitcnt vmcnt(1)
	v_lshlrev_b32_e32 v17, 16, v6
	v_mul_f32_e32 v18, 0xbfb8aa3b, v17
	v_fma_f32 v19, v17, s9, -v18
	v_rndne_f32_e32 v20, v18
	v_fmac_f32_e32 v19, 0xb2a5705f, v17
	v_sub_f32_e32 v18, v18, v20
	v_add_f32_e32 v18, v18, v19
	v_cvt_i32_f32_e32 v20, v20
	v_exp_f32_e32 v18, v18
	v_cmp_nlt_f32_e32 vcc, s10, v17
	v_ldexp_f32 v18, v18, v20
	v_cndmask_b32_e32 v18, 0, v18, vcc
	v_cmp_ngt_f32_e32 vcc, s11, v17
	v_cndmask_b32_e32 v18, v15, v18, vcc
	v_add_f32_e32 v18, 1.0, v18
	v_div_scale_f32 v19, s[4:5], v18, v18, v17
	v_rcp_f32_e32 v20, v19
	v_div_scale_f32 v21, vcc, v17, v18, v17
	v_fma_f32 v22, -v19, v20, 1.0
	v_fmac_f32_e32 v20, v22, v20
	v_mul_f32_e32 v22, v21, v20
	v_fma_f32 v23, -v19, v22, v21
	v_fmac_f32_e32 v22, v23, v20
	v_fma_f32 v19, -v19, v22, v21
	v_div_fmas_f32 v19, v19, v20, v22
	v_div_fixup_f32 v18, v19, v18, v17
	v_and_b32_e32 v17, 0x7f800000, v18
	v_cmp_ne_u32_e32 vcc, s12, v17
                                        ; implicit-def: $vgpr17
	s_and_saveexec_b64 s[4:5], vcc
	s_xor_b64 s[4:5], exec, s[4:5]
; %bb.4:                                ;   in Loop: Header=BB25_3 Depth=1
	v_bfe_u32 v17, v18, 16, 1
	v_add3_u32 v17, v18, v17, s13
                                        ; implicit-def: $vgpr18
; %bb.5:                                ;   in Loop: Header=BB25_3 Depth=1
	s_andn2_saveexec_b64 s[4:5], s[4:5]
; %bb.6:                                ;   in Loop: Header=BB25_3 Depth=1
	v_or_b32_e32 v17, 0x10000, v18
	v_cmp_eq_u32_sdwa vcc, v18, v16 src0_sel:WORD_0 src1_sel:DWORD
	v_cndmask_b32_e32 v17, v17, v18, vcc
; %bb.7:                                ;   in Loop: Header=BB25_3 Depth=1
	s_or_b64 exec, exec, s[4:5]
	v_and_b32_e32 v6, 0xffff0000, v6
	v_mul_f32_e32 v18, 0xbfb8aa3b, v6
	v_fma_f32 v19, v6, s9, -v18
	v_rndne_f32_e32 v20, v18
	v_fmac_f32_e32 v19, 0xb2a5705f, v6
	v_sub_f32_e32 v18, v18, v20
	v_add_f32_e32 v18, v18, v19
	v_cvt_i32_f32_e32 v19, v20
	v_exp_f32_e32 v18, v18
	v_cmp_nlt_f32_e32 vcc, s10, v6
	v_ldexp_f32 v18, v18, v19
	v_cndmask_b32_e32 v18, 0, v18, vcc
	v_cmp_ngt_f32_e32 vcc, s11, v6
	v_cndmask_b32_e32 v18, v15, v18, vcc
	v_add_f32_e32 v18, 1.0, v18
	v_div_scale_f32 v19, s[4:5], v18, v18, v6
	v_rcp_f32_e32 v20, v19
	v_fma_f32 v21, -v19, v20, 1.0
	v_fmac_f32_e32 v20, v21, v20
	v_div_scale_f32 v21, vcc, v6, v18, v6
	v_mul_f32_e32 v22, v21, v20
	v_fma_f32 v23, -v19, v22, v21
	v_fmac_f32_e32 v22, v23, v20
	v_fma_f32 v19, -v19, v22, v21
	v_div_fmas_f32 v19, v19, v20, v22
	v_div_fixup_f32 v6, v19, v18, v6
	v_and_b32_e32 v18, 0x7f800000, v6
	v_cmp_ne_u32_e32 vcc, s12, v18
                                        ; implicit-def: $vgpr18
	s_and_saveexec_b64 s[4:5], vcc
	s_xor_b64 s[4:5], exec, s[4:5]
; %bb.8:                                ;   in Loop: Header=BB25_3 Depth=1
	v_bfe_u32 v18, v6, 16, 1
	v_add3_u32 v18, v6, v18, s13
                                        ; implicit-def: $vgpr6
; %bb.9:                                ;   in Loop: Header=BB25_3 Depth=1
	s_andn2_saveexec_b64 s[4:5], s[4:5]
; %bb.10:                               ;   in Loop: Header=BB25_3 Depth=1
	v_or_b32_e32 v18, 0x10000, v6
	v_cmp_eq_u32_sdwa vcc, v6, v16 src0_sel:WORD_0 src1_sel:DWORD
	v_cndmask_b32_e32 v18, v18, v6, vcc
; %bb.11:                               ;   in Loop: Header=BB25_3 Depth=1
	s_or_b64 exec, exec, s[4:5]
	v_and_b32_e32 v6, 0xffff0000, v17
	s_waitcnt vmcnt(0)
	v_lshlrev_b32_e32 v17, 16, v2
	v_mul_f32_e32 v17, v17, v6
	v_and_b32_e32 v6, 0x7f800000, v17
	v_cmp_ne_u32_e32 vcc, s12, v6
                                        ; implicit-def: $vgpr6
	s_and_saveexec_b64 s[4:5], vcc
	s_xor_b64 s[4:5], exec, s[4:5]
; %bb.12:                               ;   in Loop: Header=BB25_3 Depth=1
	v_bfe_u32 v6, v17, 16, 1
	v_add3_u32 v6, v17, v6, s13
                                        ; implicit-def: $vgpr17
; %bb.13:                               ;   in Loop: Header=BB25_3 Depth=1
	s_andn2_saveexec_b64 s[4:5], s[4:5]
; %bb.14:                               ;   in Loop: Header=BB25_3 Depth=1
	v_or_b32_e32 v6, 0x10000, v17
	v_cmp_eq_u32_sdwa vcc, v17, v16 src0_sel:WORD_0 src1_sel:DWORD
	v_cndmask_b32_e32 v6, v6, v17, vcc
; %bb.15:                               ;   in Loop: Header=BB25_3 Depth=1
	s_or_b64 exec, exec, s[4:5]
	v_and_b32_e32 v17, 0xffff0000, v18
	v_and_b32_e32 v2, 0xffff0000, v2
	v_mul_f32_e32 v17, v2, v17
	v_and_b32_e32 v2, 0x7f800000, v17
	v_cmp_ne_u32_e32 vcc, s12, v2
                                        ; implicit-def: $vgpr2
	s_and_saveexec_b64 s[4:5], vcc
	s_xor_b64 s[4:5], exec, s[4:5]
; %bb.16:                               ;   in Loop: Header=BB25_3 Depth=1
	v_bfe_u32 v2, v17, 16, 1
	v_add3_u32 v2, v17, v2, s13
                                        ; implicit-def: $vgpr17
; %bb.17:                               ;   in Loop: Header=BB25_3 Depth=1
	s_andn2_saveexec_b64 s[4:5], s[4:5]
; %bb.18:                               ;   in Loop: Header=BB25_3 Depth=1
	v_or_b32_e32 v2, 0x10000, v17
	v_cmp_eq_u32_sdwa vcc, v17, v16 src0_sel:WORD_0 src1_sel:DWORD
	v_cndmask_b32_e32 v2, v2, v17, vcc
; %bb.19:                               ;   in Loop: Header=BB25_3 Depth=1
	s_or_b64 exec, exec, s[4:5]
	v_lshlrev_b32_e32 v17, 16, v7
	v_mul_f32_e32 v18, 0xbfb8aa3b, v17
	v_rndne_f32_e32 v19, v18
	v_sub_f32_e32 v20, v18, v19
	v_fma_f32 v18, v17, s9, -v18
	v_fmac_f32_e32 v18, 0xb2a5705f, v17
	v_add_f32_e32 v18, v20, v18
	v_cvt_i32_f32_e32 v19, v19
	v_exp_f32_e32 v18, v18
	v_cmp_nlt_f32_e32 vcc, s10, v17
	v_ldexp_f32 v18, v18, v19
	v_cndmask_b32_e32 v18, 0, v18, vcc
	v_cmp_ngt_f32_e32 vcc, s11, v17
	v_cndmask_b32_e32 v18, v15, v18, vcc
	v_add_f32_e32 v18, 1.0, v18
	v_div_scale_f32 v19, s[4:5], v18, v18, v17
	v_rcp_f32_e32 v20, v19
	v_fma_f32 v21, -v19, v20, 1.0
	v_fmac_f32_e32 v20, v21, v20
	v_div_scale_f32 v21, vcc, v17, v18, v17
	v_mul_f32_e32 v22, v21, v20
	v_fma_f32 v23, -v19, v22, v21
	v_fmac_f32_e32 v22, v23, v20
	v_fma_f32 v19, -v19, v22, v21
	v_div_fmas_f32 v19, v19, v20, v22
	v_div_fixup_f32 v18, v19, v18, v17
	v_and_b32_e32 v17, 0x7f800000, v18
	v_cmp_ne_u32_e32 vcc, s12, v17
                                        ; implicit-def: $vgpr17
	s_and_saveexec_b64 s[4:5], vcc
	s_xor_b64 s[4:5], exec, s[4:5]
; %bb.20:                               ;   in Loop: Header=BB25_3 Depth=1
	v_bfe_u32 v17, v18, 16, 1
	v_add3_u32 v17, v18, v17, s13
                                        ; implicit-def: $vgpr18
; %bb.21:                               ;   in Loop: Header=BB25_3 Depth=1
	s_andn2_saveexec_b64 s[4:5], s[4:5]
; %bb.22:                               ;   in Loop: Header=BB25_3 Depth=1
	v_or_b32_e32 v17, 0x10000, v18
	v_cmp_eq_u32_sdwa vcc, v18, v16 src0_sel:WORD_0 src1_sel:DWORD
	v_cndmask_b32_e32 v17, v17, v18, vcc
; %bb.23:                               ;   in Loop: Header=BB25_3 Depth=1
	s_or_b64 exec, exec, s[4:5]
	v_and_b32_e32 v7, 0xffff0000, v7
	v_mul_f32_e32 v18, 0xbfb8aa3b, v7
	v_fma_f32 v19, v7, s9, -v18
	v_rndne_f32_e32 v20, v18
	v_fmac_f32_e32 v19, 0xb2a5705f, v7
	v_sub_f32_e32 v18, v18, v20
	v_add_f32_e32 v18, v18, v19
	v_cvt_i32_f32_e32 v19, v20
	v_exp_f32_e32 v18, v18
	v_cmp_nlt_f32_e32 vcc, s10, v7
	v_ldexp_f32 v18, v18, v19
	v_cndmask_b32_e32 v18, 0, v18, vcc
	v_cmp_ngt_f32_e32 vcc, s11, v7
	v_cndmask_b32_e32 v18, v15, v18, vcc
	v_add_f32_e32 v18, 1.0, v18
	v_div_scale_f32 v19, s[4:5], v18, v18, v7
	v_rcp_f32_e32 v20, v19
	v_fma_f32 v21, -v19, v20, 1.0
	v_fmac_f32_e32 v20, v21, v20
	v_div_scale_f32 v21, vcc, v7, v18, v7
	v_mul_f32_e32 v22, v21, v20
	v_fma_f32 v23, -v19, v22, v21
	v_fmac_f32_e32 v22, v23, v20
	v_fma_f32 v19, -v19, v22, v21
	v_div_fmas_f32 v19, v19, v20, v22
	v_div_fixup_f32 v7, v19, v18, v7
	v_and_b32_e32 v18, 0x7f800000, v7
	v_cmp_ne_u32_e32 vcc, s12, v18
                                        ; implicit-def: $vgpr18
	s_and_saveexec_b64 s[4:5], vcc
	s_xor_b64 s[4:5], exec, s[4:5]
; %bb.24:                               ;   in Loop: Header=BB25_3 Depth=1
	v_bfe_u32 v18, v7, 16, 1
	v_add3_u32 v18, v7, v18, s13
                                        ; implicit-def: $vgpr7
; %bb.25:                               ;   in Loop: Header=BB25_3 Depth=1
	s_andn2_saveexec_b64 s[4:5], s[4:5]
; %bb.26:                               ;   in Loop: Header=BB25_3 Depth=1
	v_or_b32_e32 v18, 0x10000, v7
	v_cmp_eq_u32_sdwa vcc, v7, v16 src0_sel:WORD_0 src1_sel:DWORD
	v_cndmask_b32_e32 v18, v18, v7, vcc
; %bb.27:                               ;   in Loop: Header=BB25_3 Depth=1
	s_or_b64 exec, exec, s[4:5]
	v_and_b32_e32 v7, 0xffff0000, v17
	v_lshlrev_b32_e32 v17, 16, v3
	v_mul_f32_e32 v17, v17, v7
	v_and_b32_e32 v7, 0x7f800000, v17
	v_cmp_ne_u32_e32 vcc, s12, v7
                                        ; implicit-def: $vgpr7
	s_and_saveexec_b64 s[4:5], vcc
	s_xor_b64 s[4:5], exec, s[4:5]
; %bb.28:                               ;   in Loop: Header=BB25_3 Depth=1
	v_bfe_u32 v7, v17, 16, 1
	v_add3_u32 v7, v17, v7, s13
                                        ; implicit-def: $vgpr17
; %bb.29:                               ;   in Loop: Header=BB25_3 Depth=1
	s_andn2_saveexec_b64 s[4:5], s[4:5]
; %bb.30:                               ;   in Loop: Header=BB25_3 Depth=1
	v_or_b32_e32 v7, 0x10000, v17
	v_cmp_eq_u32_sdwa vcc, v17, v16 src0_sel:WORD_0 src1_sel:DWORD
	v_cndmask_b32_e32 v7, v7, v17, vcc
; %bb.31:                               ;   in Loop: Header=BB25_3 Depth=1
	s_or_b64 exec, exec, s[4:5]
	v_and_b32_e32 v17, 0xffff0000, v18
	v_and_b32_e32 v3, 0xffff0000, v3
	v_mul_f32_e32 v17, v3, v17
	v_and_b32_e32 v3, 0x7f800000, v17
	v_cmp_ne_u32_e32 vcc, s12, v3
                                        ; implicit-def: $vgpr3
	s_and_saveexec_b64 s[4:5], vcc
	s_xor_b64 s[4:5], exec, s[4:5]
; %bb.32:                               ;   in Loop: Header=BB25_3 Depth=1
	v_bfe_u32 v3, v17, 16, 1
	v_add3_u32 v3, v17, v3, s13
                                        ; implicit-def: $vgpr17
; %bb.33:                               ;   in Loop: Header=BB25_3 Depth=1
	s_andn2_saveexec_b64 s[4:5], s[4:5]
; %bb.34:                               ;   in Loop: Header=BB25_3 Depth=1
	v_or_b32_e32 v3, 0x10000, v17
	v_cmp_eq_u32_sdwa vcc, v17, v16 src0_sel:WORD_0 src1_sel:DWORD
	v_cndmask_b32_e32 v3, v3, v17, vcc
; %bb.35:                               ;   in Loop: Header=BB25_3 Depth=1
	s_or_b64 exec, exec, s[4:5]
	v_lshlrev_b32_e32 v17, 16, v8
	v_mul_f32_e32 v18, 0xbfb8aa3b, v17
	v_rndne_f32_e32 v19, v18
	v_sub_f32_e32 v20, v18, v19
	v_fma_f32 v18, v17, s9, -v18
	v_fmac_f32_e32 v18, 0xb2a5705f, v17
	v_add_f32_e32 v18, v20, v18
	v_cvt_i32_f32_e32 v19, v19
	v_exp_f32_e32 v18, v18
	v_cmp_nlt_f32_e32 vcc, s10, v17
	v_ldexp_f32 v18, v18, v19
	v_cndmask_b32_e32 v18, 0, v18, vcc
	v_cmp_ngt_f32_e32 vcc, s11, v17
	v_cndmask_b32_e32 v18, v15, v18, vcc
	v_add_f32_e32 v18, 1.0, v18
	v_div_scale_f32 v19, s[4:5], v18, v18, v17
	v_rcp_f32_e32 v20, v19
	v_fma_f32 v21, -v19, v20, 1.0
	v_fmac_f32_e32 v20, v21, v20
	v_div_scale_f32 v21, vcc, v17, v18, v17
	v_mul_f32_e32 v22, v21, v20
	v_fma_f32 v23, -v19, v22, v21
	v_fmac_f32_e32 v22, v23, v20
	v_fma_f32 v19, -v19, v22, v21
	v_div_fmas_f32 v19, v19, v20, v22
	v_div_fixup_f32 v18, v19, v18, v17
	v_and_b32_e32 v17, 0x7f800000, v18
	v_cmp_ne_u32_e32 vcc, s12, v17
                                        ; implicit-def: $vgpr17
	s_and_saveexec_b64 s[4:5], vcc
	s_xor_b64 s[4:5], exec, s[4:5]
; %bb.36:                               ;   in Loop: Header=BB25_3 Depth=1
	v_bfe_u32 v17, v18, 16, 1
	v_add3_u32 v17, v18, v17, s13
                                        ; implicit-def: $vgpr18
; %bb.37:                               ;   in Loop: Header=BB25_3 Depth=1
	s_andn2_saveexec_b64 s[4:5], s[4:5]
; %bb.38:                               ;   in Loop: Header=BB25_3 Depth=1
	v_or_b32_e32 v17, 0x10000, v18
	v_cmp_eq_u32_sdwa vcc, v18, v16 src0_sel:WORD_0 src1_sel:DWORD
	v_cndmask_b32_e32 v17, v17, v18, vcc
; %bb.39:                               ;   in Loop: Header=BB25_3 Depth=1
	s_or_b64 exec, exec, s[4:5]
	v_and_b32_e32 v8, 0xffff0000, v8
	v_mul_f32_e32 v18, 0xbfb8aa3b, v8
	v_fma_f32 v19, v8, s9, -v18
	v_rndne_f32_e32 v20, v18
	v_fmac_f32_e32 v19, 0xb2a5705f, v8
	v_sub_f32_e32 v18, v18, v20
	v_add_f32_e32 v18, v18, v19
	v_cvt_i32_f32_e32 v19, v20
	v_exp_f32_e32 v18, v18
	v_cmp_nlt_f32_e32 vcc, s10, v8
	v_ldexp_f32 v18, v18, v19
	v_cndmask_b32_e32 v18, 0, v18, vcc
	v_cmp_ngt_f32_e32 vcc, s11, v8
	v_cndmask_b32_e32 v18, v15, v18, vcc
	v_add_f32_e32 v18, 1.0, v18
	v_div_scale_f32 v19, s[4:5], v18, v18, v8
	v_rcp_f32_e32 v20, v19
	v_fma_f32 v21, -v19, v20, 1.0
	v_fmac_f32_e32 v20, v21, v20
	v_div_scale_f32 v21, vcc, v8, v18, v8
	v_mul_f32_e32 v22, v21, v20
	v_fma_f32 v23, -v19, v22, v21
	v_fmac_f32_e32 v22, v23, v20
	v_fma_f32 v19, -v19, v22, v21
	v_div_fmas_f32 v19, v19, v20, v22
	v_div_fixup_f32 v8, v19, v18, v8
	v_and_b32_e32 v18, 0x7f800000, v8
	v_cmp_ne_u32_e32 vcc, s12, v18
                                        ; implicit-def: $vgpr18
	s_and_saveexec_b64 s[4:5], vcc
	s_xor_b64 s[4:5], exec, s[4:5]
; %bb.40:                               ;   in Loop: Header=BB25_3 Depth=1
	v_bfe_u32 v18, v8, 16, 1
	v_add3_u32 v18, v8, v18, s13
                                        ; implicit-def: $vgpr8
; %bb.41:                               ;   in Loop: Header=BB25_3 Depth=1
	s_andn2_saveexec_b64 s[4:5], s[4:5]
; %bb.42:                               ;   in Loop: Header=BB25_3 Depth=1
	v_or_b32_e32 v18, 0x10000, v8
	v_cmp_eq_u32_sdwa vcc, v8, v16 src0_sel:WORD_0 src1_sel:DWORD
	v_cndmask_b32_e32 v18, v18, v8, vcc
; %bb.43:                               ;   in Loop: Header=BB25_3 Depth=1
	s_or_b64 exec, exec, s[4:5]
	v_and_b32_e32 v8, 0xffff0000, v17
	v_lshlrev_b32_e32 v17, 16, v4
	v_mul_f32_e32 v17, v17, v8
	v_and_b32_e32 v8, 0x7f800000, v17
	v_cmp_ne_u32_e32 vcc, s12, v8
                                        ; implicit-def: $vgpr8
	s_and_saveexec_b64 s[4:5], vcc
	s_xor_b64 s[4:5], exec, s[4:5]
; %bb.44:                               ;   in Loop: Header=BB25_3 Depth=1
	v_bfe_u32 v8, v17, 16, 1
	v_add3_u32 v8, v17, v8, s13
                                        ; implicit-def: $vgpr17
; %bb.45:                               ;   in Loop: Header=BB25_3 Depth=1
	s_andn2_saveexec_b64 s[4:5], s[4:5]
; %bb.46:                               ;   in Loop: Header=BB25_3 Depth=1
	v_or_b32_e32 v8, 0x10000, v17
	v_cmp_eq_u32_sdwa vcc, v17, v16 src0_sel:WORD_0 src1_sel:DWORD
	v_cndmask_b32_e32 v8, v8, v17, vcc
; %bb.47:                               ;   in Loop: Header=BB25_3 Depth=1
	s_or_b64 exec, exec, s[4:5]
	v_and_b32_e32 v17, 0xffff0000, v18
	v_and_b32_e32 v4, 0xffff0000, v4
	v_mul_f32_e32 v17, v4, v17
	v_and_b32_e32 v4, 0x7f800000, v17
	v_cmp_ne_u32_e32 vcc, s12, v4
                                        ; implicit-def: $vgpr4
	s_and_saveexec_b64 s[4:5], vcc
	s_xor_b64 s[4:5], exec, s[4:5]
; %bb.48:                               ;   in Loop: Header=BB25_3 Depth=1
	v_bfe_u32 v4, v17, 16, 1
	v_add3_u32 v4, v17, v4, s13
                                        ; implicit-def: $vgpr17
; %bb.49:                               ;   in Loop: Header=BB25_3 Depth=1
	s_andn2_saveexec_b64 s[4:5], s[4:5]
; %bb.50:                               ;   in Loop: Header=BB25_3 Depth=1
	v_or_b32_e32 v4, 0x10000, v17
	v_cmp_eq_u32_sdwa vcc, v17, v16 src0_sel:WORD_0 src1_sel:DWORD
	v_cndmask_b32_e32 v4, v4, v17, vcc
; %bb.51:                               ;   in Loop: Header=BB25_3 Depth=1
	s_or_b64 exec, exec, s[4:5]
	v_lshlrev_b32_e32 v17, 16, v9
	v_mul_f32_e32 v18, 0xbfb8aa3b, v17
	v_rndne_f32_e32 v19, v18
	v_sub_f32_e32 v20, v18, v19
	v_fma_f32 v18, v17, s9, -v18
	v_fmac_f32_e32 v18, 0xb2a5705f, v17
	v_add_f32_e32 v18, v20, v18
	v_cvt_i32_f32_e32 v19, v19
	v_exp_f32_e32 v18, v18
	v_cmp_nlt_f32_e32 vcc, s10, v17
	v_ldexp_f32 v18, v18, v19
	v_cndmask_b32_e32 v18, 0, v18, vcc
	v_cmp_ngt_f32_e32 vcc, s11, v17
	v_cndmask_b32_e32 v18, v15, v18, vcc
	v_add_f32_e32 v18, 1.0, v18
	v_div_scale_f32 v19, s[4:5], v18, v18, v17
	v_rcp_f32_e32 v20, v19
	v_fma_f32 v21, -v19, v20, 1.0
	v_fmac_f32_e32 v20, v21, v20
	v_div_scale_f32 v21, vcc, v17, v18, v17
	v_mul_f32_e32 v22, v21, v20
	v_fma_f32 v23, -v19, v22, v21
	v_fmac_f32_e32 v22, v23, v20
	v_fma_f32 v19, -v19, v22, v21
	v_div_fmas_f32 v19, v19, v20, v22
	v_div_fixup_f32 v18, v19, v18, v17
	v_and_b32_e32 v17, 0x7f800000, v18
	v_cmp_ne_u32_e32 vcc, s12, v17
                                        ; implicit-def: $vgpr17
	s_and_saveexec_b64 s[4:5], vcc
	s_xor_b64 s[4:5], exec, s[4:5]
; %bb.52:                               ;   in Loop: Header=BB25_3 Depth=1
	v_bfe_u32 v17, v18, 16, 1
	v_add3_u32 v17, v18, v17, s13
                                        ; implicit-def: $vgpr18
; %bb.53:                               ;   in Loop: Header=BB25_3 Depth=1
	s_andn2_saveexec_b64 s[4:5], s[4:5]
; %bb.54:                               ;   in Loop: Header=BB25_3 Depth=1
	v_or_b32_e32 v17, 0x10000, v18
	v_cmp_eq_u32_sdwa vcc, v18, v16 src0_sel:WORD_0 src1_sel:DWORD
	v_cndmask_b32_e32 v17, v17, v18, vcc
; %bb.55:                               ;   in Loop: Header=BB25_3 Depth=1
	s_or_b64 exec, exec, s[4:5]
	v_and_b32_e32 v9, 0xffff0000, v9
	v_mul_f32_e32 v18, 0xbfb8aa3b, v9
	v_fma_f32 v19, v9, s9, -v18
	v_rndne_f32_e32 v20, v18
	v_fmac_f32_e32 v19, 0xb2a5705f, v9
	v_sub_f32_e32 v18, v18, v20
	v_add_f32_e32 v18, v18, v19
	v_cvt_i32_f32_e32 v19, v20
	v_exp_f32_e32 v18, v18
	v_cmp_nlt_f32_e32 vcc, s10, v9
	v_ldexp_f32 v18, v18, v19
	v_cndmask_b32_e32 v18, 0, v18, vcc
	v_cmp_ngt_f32_e32 vcc, s11, v9
	v_cndmask_b32_e32 v18, v15, v18, vcc
	v_add_f32_e32 v18, 1.0, v18
	v_div_scale_f32 v19, s[4:5], v18, v18, v9
	v_rcp_f32_e32 v20, v19
	v_fma_f32 v21, -v19, v20, 1.0
	v_fmac_f32_e32 v20, v21, v20
	v_div_scale_f32 v21, vcc, v9, v18, v9
	v_mul_f32_e32 v22, v21, v20
	v_fma_f32 v23, -v19, v22, v21
	v_fmac_f32_e32 v22, v23, v20
	v_fma_f32 v19, -v19, v22, v21
	v_div_fmas_f32 v19, v19, v20, v22
	v_div_fixup_f32 v18, v19, v18, v9
	v_and_b32_e32 v9, 0x7f800000, v18
	v_cmp_ne_u32_e32 vcc, s12, v9
                                        ; implicit-def: $vgpr9
	s_and_saveexec_b64 s[4:5], vcc
	s_xor_b64 s[4:5], exec, s[4:5]
; %bb.56:                               ;   in Loop: Header=BB25_3 Depth=1
	v_bfe_u32 v9, v18, 16, 1
	v_add3_u32 v9, v18, v9, s13
                                        ; implicit-def: $vgpr18
; %bb.57:                               ;   in Loop: Header=BB25_3 Depth=1
	s_andn2_saveexec_b64 s[4:5], s[4:5]
; %bb.58:                               ;   in Loop: Header=BB25_3 Depth=1
	v_or_b32_e32 v9, 0x10000, v18
	v_cmp_eq_u32_sdwa vcc, v18, v16 src0_sel:WORD_0 src1_sel:DWORD
	v_cndmask_b32_e32 v9, v9, v18, vcc
; %bb.59:                               ;   in Loop: Header=BB25_3 Depth=1
	s_or_b64 exec, exec, s[4:5]
	v_and_b32_e32 v17, 0xffff0000, v17
	v_lshlrev_b32_e32 v18, 16, v5
	v_mul_f32_e32 v18, v18, v17
	v_and_b32_e32 v17, 0x7f800000, v18
	v_cmp_ne_u32_e32 vcc, s12, v17
                                        ; implicit-def: $vgpr17
	s_and_saveexec_b64 s[4:5], vcc
	s_xor_b64 s[4:5], exec, s[4:5]
; %bb.60:                               ;   in Loop: Header=BB25_3 Depth=1
	v_bfe_u32 v17, v18, 16, 1
	v_add3_u32 v17, v18, v17, s13
                                        ; implicit-def: $vgpr18
; %bb.61:                               ;   in Loop: Header=BB25_3 Depth=1
	s_andn2_saveexec_b64 s[4:5], s[4:5]
; %bb.62:                               ;   in Loop: Header=BB25_3 Depth=1
	v_or_b32_e32 v17, 0x10000, v18
	v_cmp_eq_u32_sdwa vcc, v18, v16 src0_sel:WORD_0 src1_sel:DWORD
	v_cndmask_b32_e32 v17, v17, v18, vcc
; %bb.63:                               ;   in Loop: Header=BB25_3 Depth=1
	s_or_b64 exec, exec, s[4:5]
	v_and_b32_e32 v9, 0xffff0000, v9
	v_and_b32_e32 v5, 0xffff0000, v5
	v_mul_f32_e32 v5, v5, v9
	v_and_b32_e32 v9, 0x7f800000, v5
	v_cmp_ne_u32_e32 vcc, s12, v9
                                        ; implicit-def: $vgpr9
	s_and_saveexec_b64 s[4:5], vcc
	s_xor_b64 s[4:5], exec, s[4:5]
; %bb.64:                               ;   in Loop: Header=BB25_3 Depth=1
	v_bfe_u32 v9, v5, 16, 1
	v_add3_u32 v9, v5, v9, s13
                                        ; implicit-def: $vgpr5
; %bb.65:                               ;   in Loop: Header=BB25_3 Depth=1
	s_andn2_saveexec_b64 s[4:5], s[4:5]
	s_cbranch_execz .LBB25_2
; %bb.66:                               ;   in Loop: Header=BB25_3 Depth=1
	v_or_b32_e32 v9, 0x10000, v5
	v_cmp_eq_u32_sdwa vcc, v5, v16 src0_sel:WORD_0 src1_sel:DWORD
	v_cndmask_b32_e32 v9, v9, v5, vcc
	s_branch .LBB25_2
.LBB25_67:
	s_endpgm
	.section	.rodata,"a",@progbits
	.p2align	6, 0x0
	.amdhsa_kernel _ZN4vllm18act_and_mul_kernelIN3c108BFloat16E15__hip_bfloat162TnPFT_RKS4_EXadL_ZNS_11silu_kernelIS2_EES4_S6_EETnPFT0_RKSA_EXadL_ZNS_18packed_silu_kernelIS3_EES4_S6_EELb0ELb1ELb0ELb0EEEvPS4_PS5_if
		.amdhsa_group_segment_fixed_size 0
		.amdhsa_private_segment_fixed_size 0
		.amdhsa_kernarg_size 280
		.amdhsa_user_sgpr_count 6
		.amdhsa_user_sgpr_private_segment_buffer 1
		.amdhsa_user_sgpr_dispatch_ptr 0
		.amdhsa_user_sgpr_queue_ptr 0
		.amdhsa_user_sgpr_kernarg_segment_ptr 1
		.amdhsa_user_sgpr_dispatch_id 0
		.amdhsa_user_sgpr_flat_scratch_init 0
		.amdhsa_user_sgpr_kernarg_preload_length 0
		.amdhsa_user_sgpr_kernarg_preload_offset 0
		.amdhsa_user_sgpr_private_segment_size 0
		.amdhsa_uses_dynamic_stack 0
		.amdhsa_system_sgpr_private_segment_wavefront_offset 0
		.amdhsa_system_sgpr_workgroup_id_x 1
		.amdhsa_system_sgpr_workgroup_id_y 0
		.amdhsa_system_sgpr_workgroup_id_z 0
		.amdhsa_system_sgpr_workgroup_info 0
		.amdhsa_system_vgpr_workitem_id 0
		.amdhsa_next_free_vgpr 24
		.amdhsa_next_free_sgpr 16
		.amdhsa_accum_offset 24
		.amdhsa_reserve_vcc 1
		.amdhsa_reserve_flat_scratch 0
		.amdhsa_float_round_mode_32 0
		.amdhsa_float_round_mode_16_64 0
		.amdhsa_float_denorm_mode_32 3
		.amdhsa_float_denorm_mode_16_64 3
		.amdhsa_dx10_clamp 1
		.amdhsa_ieee_mode 1
		.amdhsa_fp16_overflow 0
		.amdhsa_tg_split 0
		.amdhsa_exception_fp_ieee_invalid_op 0
		.amdhsa_exception_fp_denorm_src 0
		.amdhsa_exception_fp_ieee_div_zero 0
		.amdhsa_exception_fp_ieee_overflow 0
		.amdhsa_exception_fp_ieee_underflow 0
		.amdhsa_exception_fp_ieee_inexact 0
		.amdhsa_exception_int_div_zero 0
	.end_amdhsa_kernel
	.section	.text._ZN4vllm18act_and_mul_kernelIN3c108BFloat16E15__hip_bfloat162TnPFT_RKS4_EXadL_ZNS_11silu_kernelIS2_EES4_S6_EETnPFT0_RKSA_EXadL_ZNS_18packed_silu_kernelIS3_EES4_S6_EELb0ELb1ELb0ELb0EEEvPS4_PS5_if,"axG",@progbits,_ZN4vllm18act_and_mul_kernelIN3c108BFloat16E15__hip_bfloat162TnPFT_RKS4_EXadL_ZNS_11silu_kernelIS2_EES4_S6_EETnPFT0_RKSA_EXadL_ZNS_18packed_silu_kernelIS3_EES4_S6_EELb0ELb1ELb0ELb0EEEvPS4_PS5_if,comdat
.Lfunc_end25:
	.size	_ZN4vllm18act_and_mul_kernelIN3c108BFloat16E15__hip_bfloat162TnPFT_RKS4_EXadL_ZNS_11silu_kernelIS2_EES4_S6_EETnPFT0_RKSA_EXadL_ZNS_18packed_silu_kernelIS3_EES4_S6_EELb0ELb1ELb0ELb0EEEvPS4_PS5_if, .Lfunc_end25-_ZN4vllm18act_and_mul_kernelIN3c108BFloat16E15__hip_bfloat162TnPFT_RKS4_EXadL_ZNS_11silu_kernelIS2_EES4_S6_EETnPFT0_RKSA_EXadL_ZNS_18packed_silu_kernelIS3_EES4_S6_EELb0ELb1ELb0ELb0EEEvPS4_PS5_if
                                        ; -- End function
	.section	.AMDGPU.csdata,"",@progbits
; Kernel info:
; codeLenInByte = 2728
; NumSgprs: 20
; NumVgprs: 24
; NumAgprs: 0
; TotalNumVgprs: 24
; ScratchSize: 0
; MemoryBound: 0
; FloatMode: 240
; IeeeMode: 1
; LDSByteSize: 0 bytes/workgroup (compile time only)
; SGPRBlocks: 2
; VGPRBlocks: 2
; NumSGPRsForWavesPerEU: 20
; NumVGPRsForWavesPerEU: 24
; AccumOffset: 24
; Occupancy: 8
; WaveLimiterHint : 0
; COMPUTE_PGM_RSRC2:SCRATCH_EN: 0
; COMPUTE_PGM_RSRC2:USER_SGPR: 6
; COMPUTE_PGM_RSRC2:TRAP_HANDLER: 0
; COMPUTE_PGM_RSRC2:TGID_X_EN: 1
; COMPUTE_PGM_RSRC2:TGID_Y_EN: 0
; COMPUTE_PGM_RSRC2:TGID_Z_EN: 0
; COMPUTE_PGM_RSRC2:TIDIG_COMP_CNT: 0
; COMPUTE_PGM_RSRC3_GFX90A:ACCUM_OFFSET: 5
; COMPUTE_PGM_RSRC3_GFX90A:TG_SPLIT: 0
	.section	.text._ZN4vllm18act_and_mul_kernelIf15HIP_vector_typeIfLj2EETnPFT_RKS3_EXadL_ZNS_11silu_kernelIfEES3_S5_EETnPFT0_RKS9_EXadL_ZNS_18packed_silu_kernelIS2_EES3_S5_EELb0ELb0ELb0ELb0EEEvPS3_PS4_if,"axG",@progbits,_ZN4vllm18act_and_mul_kernelIf15HIP_vector_typeIfLj2EETnPFT_RKS3_EXadL_ZNS_11silu_kernelIfEES3_S5_EETnPFT0_RKS9_EXadL_ZNS_18packed_silu_kernelIS2_EES3_S5_EELb0ELb0ELb0ELb0EEEvPS3_PS4_if,comdat
	.protected	_ZN4vllm18act_and_mul_kernelIf15HIP_vector_typeIfLj2EETnPFT_RKS3_EXadL_ZNS_11silu_kernelIfEES3_S5_EETnPFT0_RKS9_EXadL_ZNS_18packed_silu_kernelIS2_EES3_S5_EELb0ELb0ELb0ELb0EEEvPS3_PS4_if ; -- Begin function _ZN4vllm18act_and_mul_kernelIf15HIP_vector_typeIfLj2EETnPFT_RKS3_EXadL_ZNS_11silu_kernelIfEES3_S5_EETnPFT0_RKS9_EXadL_ZNS_18packed_silu_kernelIS2_EES3_S5_EELb0ELb0ELb0ELb0EEEvPS3_PS4_if
	.globl	_ZN4vllm18act_and_mul_kernelIf15HIP_vector_typeIfLj2EETnPFT_RKS3_EXadL_ZNS_11silu_kernelIfEES3_S5_EETnPFT0_RKS9_EXadL_ZNS_18packed_silu_kernelIS2_EES3_S5_EELb0ELb0ELb0ELb0EEEvPS3_PS4_if
	.p2align	8
	.type	_ZN4vllm18act_and_mul_kernelIf15HIP_vector_typeIfLj2EETnPFT_RKS3_EXadL_ZNS_11silu_kernelIfEES3_S5_EETnPFT0_RKS9_EXadL_ZNS_18packed_silu_kernelIS2_EES3_S5_EELb0ELb0ELb0ELb0EEEvPS3_PS4_if,@function
_ZN4vllm18act_and_mul_kernelIf15HIP_vector_typeIfLj2EETnPFT_RKS3_EXadL_ZNS_11silu_kernelIfEES3_S5_EETnPFT0_RKS9_EXadL_ZNS_18packed_silu_kernelIS2_EES3_S5_EELb0ELb0ELb0ELb0EEEvPS3_PS4_if: ; @_ZN4vllm18act_and_mul_kernelIf15HIP_vector_typeIfLj2EETnPFT_RKS3_EXadL_ZNS_11silu_kernelIfEES3_S5_EETnPFT0_RKS9_EXadL_ZNS_18packed_silu_kernelIS2_EES3_S5_EELb0ELb0ELb0ELb0EEEvPS3_PS4_if
; %bb.0:
	s_load_dword s2, s[4:5], 0x10
	s_waitcnt lgkmcnt(0)
	v_cmp_gt_i32_e32 vcc, s2, v0
	s_and_saveexec_b64 s[0:1], vcc
	s_cbranch_execz .LBB26_12
; %bb.1:
	s_load_dword s0, s[4:5], 0x24
	s_ashr_i32 s3, s2, 31
	v_mov_b32_e32 v2, s3
	v_mov_b32_e32 v1, 0
	s_mov_b32 s19, 0
	s_waitcnt lgkmcnt(0)
	s_and_b32 s18, s0, 0xffff
	v_add_co_u32_e32 v4, vcc, s18, v0
	v_addc_co_u32_e64 v5, s[0:1], 0, 0, vcc
	v_cmp_lt_i64_e32 vcc, s[2:3], v[4:5]
	v_cndmask_b32_e32 v6, v2, v5, vcc
	v_mov_b32_e32 v2, s2
	v_cndmask_b32_e32 v3, v2, v4, vcc
	v_cmp_gt_i64_e32 vcc, s[2:3], v[4:5]
	v_cndmask_b32_e64 v2, 0, 1, vcc
	v_add_co_u32_e32 v4, vcc, v4, v2
	v_addc_co_u32_e32 v5, vcc, 0, v5, vcc
	v_sub_co_u32_e32 v3, vcc, v3, v4
	v_subb_co_u32_e32 v5, vcc, v6, v5, vcc
	v_mov_b32_e32 v4, v1
	v_cmp_ne_u64_e32 vcc, 0, v[4:5]
                                        ; implicit-def: $vgpr6_vgpr7
	s_and_saveexec_b64 s[0:1], vcc
	s_xor_b64 s[8:9], exec, s[0:1]
	s_cbranch_execz .LBB26_3
; %bb.2:
	v_cvt_f32_u32_e32 v4, s18
	v_mov_b32_e32 v6, 0x4f800000
	s_sub_u32 s0, 0, s18
	s_subb_u32 s1, 0, 0
	v_mac_f32_e32 v4, 0, v6
	v_rcp_f32_e32 v4, v4
	v_mul_f32_e32 v4, 0x5f7ffffc, v4
	v_mul_f32_e32 v6, 0x2f800000, v4
	v_trunc_f32_e32 v6, v6
	v_madmk_f32 v4, v6, 0xcf800000, v4
	v_cvt_u32_f32_e32 v6, v6
	v_cvt_u32_f32_e32 v4, v4
	v_mul_lo_u32 v7, s0, v6
	v_mul_hi_u32 v9, s0, v4
	v_mul_lo_u32 v8, s1, v4
	v_add_u32_e32 v7, v9, v7
	v_mul_lo_u32 v10, s0, v4
	v_add_u32_e32 v7, v7, v8
	v_mul_hi_u32 v9, v4, v10
	v_mul_lo_u32 v11, v4, v7
	v_mul_hi_u32 v8, v4, v7
	v_add_co_u32_e32 v9, vcc, v9, v11
	v_addc_co_u32_e32 v8, vcc, 0, v8, vcc
	v_mul_hi_u32 v12, v6, v10
	v_mul_lo_u32 v10, v6, v10
	v_add_co_u32_e32 v9, vcc, v9, v10
	v_mul_hi_u32 v11, v6, v7
	v_addc_co_u32_e32 v8, vcc, v8, v12, vcc
	v_addc_co_u32_e32 v9, vcc, 0, v11, vcc
	v_mul_lo_u32 v7, v6, v7
	v_add_co_u32_e32 v7, vcc, v8, v7
	v_addc_co_u32_e32 v8, vcc, 0, v9, vcc
	v_add_co_u32_e32 v4, vcc, v4, v7
	v_addc_co_u32_e32 v6, vcc, v6, v8, vcc
	v_mul_lo_u32 v7, s0, v6
	v_mul_hi_u32 v8, s0, v4
	v_add_u32_e32 v7, v8, v7
	v_mul_lo_u32 v8, s1, v4
	v_add_u32_e32 v7, v7, v8
	v_mul_lo_u32 v9, s0, v4
	v_mul_hi_u32 v10, v6, v9
	v_mul_lo_u32 v11, v6, v9
	v_mul_lo_u32 v13, v4, v7
	v_mul_hi_u32 v9, v4, v9
	v_mul_hi_u32 v12, v4, v7
	v_add_co_u32_e32 v9, vcc, v9, v13
	v_addc_co_u32_e32 v12, vcc, 0, v12, vcc
	v_add_co_u32_e32 v9, vcc, v9, v11
	v_mul_hi_u32 v8, v6, v7
	v_addc_co_u32_e32 v9, vcc, v12, v10, vcc
	v_addc_co_u32_e32 v8, vcc, 0, v8, vcc
	v_mul_lo_u32 v7, v6, v7
	v_add_co_u32_e32 v7, vcc, v9, v7
	v_addc_co_u32_e32 v8, vcc, 0, v8, vcc
	v_add_co_u32_e32 v4, vcc, v4, v7
	v_addc_co_u32_e32 v8, vcc, v6, v8, vcc
	v_mad_u64_u32 v[6:7], s[0:1], v3, v8, 0
	v_mul_hi_u32 v9, v3, v4
	v_add_co_u32_e32 v10, vcc, v9, v6
	v_addc_co_u32_e32 v11, vcc, 0, v7, vcc
	v_mad_u64_u32 v[6:7], s[0:1], v5, v8, 0
	v_mad_u64_u32 v[8:9], s[0:1], v5, v4, 0
	v_add_co_u32_e32 v4, vcc, v10, v8
	v_addc_co_u32_e32 v4, vcc, v11, v9, vcc
	v_addc_co_u32_e32 v7, vcc, 0, v7, vcc
	v_add_co_u32_e32 v10, vcc, v4, v6
	v_addc_co_u32_e32 v11, vcc, 0, v7, vcc
	v_mad_u64_u32 v[6:7], s[0:1], s18, v10, 0
	v_mov_b32_e32 v4, v7
	v_mad_u64_u32 v[8:9], s[0:1], s18, v11, v[4:5]
	v_sub_co_u32_e32 v3, vcc, v3, v6
	v_subb_co_u32_e32 v4, vcc, v5, v8, vcc
	v_subrev_co_u32_e32 v5, vcc, s18, v3
	v_subbrev_co_u32_e32 v6, vcc, 0, v4, vcc
	v_cmp_le_u32_e32 vcc, s18, v5
	v_cndmask_b32_e64 v5, 0, -1, vcc
	v_cmp_eq_u32_e32 vcc, 0, v6
	v_cndmask_b32_e32 v5, -1, v5, vcc
	v_add_co_u32_e32 v6, vcc, 2, v10
	v_addc_co_u32_e32 v7, vcc, 0, v11, vcc
	v_add_co_u32_e32 v8, vcc, 1, v10
	v_cmp_le_u32_e64 s[0:1], s18, v3
	v_addc_co_u32_e32 v9, vcc, 0, v11, vcc
	v_cndmask_b32_e64 v3, 0, -1, s[0:1]
	v_cmp_eq_u32_e64 s[0:1], 0, v4
	v_cmp_ne_u32_e32 vcc, 0, v5
	v_cndmask_b32_e64 v3, -1, v3, s[0:1]
	v_cndmask_b32_e32 v5, v9, v7, vcc
	v_cmp_ne_u32_e64 s[0:1], 0, v3
	v_cndmask_b32_e32 v3, v8, v6, vcc
	v_cndmask_b32_e64 v7, v11, v5, s[0:1]
	v_cndmask_b32_e64 v6, v10, v3, s[0:1]
                                        ; implicit-def: $vgpr3
.LBB26_3:
	s_or_saveexec_b64 s[0:1], s[8:9]
	s_load_dwordx4 s[8:11], s[4:5], 0x0
	s_xor_b64 exec, exec, s[0:1]
	s_cbranch_execz .LBB26_5
; %bb.4:
	v_cvt_f32_u32_e32 v4, s18
	s_sub_i32 s4, 0, s18
	v_mov_b32_e32 v7, 0
	v_rcp_iflag_f32_e32 v4, v4
	v_mul_f32_e32 v4, 0x4f7ffffe, v4
	v_cvt_u32_f32_e32 v4, v4
	v_mul_lo_u32 v5, s4, v4
	v_mul_hi_u32 v5, v4, v5
	v_add_u32_e32 v4, v4, v5
	v_mul_hi_u32 v4, v3, v4
	v_mul_lo_u32 v5, v4, s18
	v_sub_u32_e32 v3, v3, v5
	v_add_u32_e32 v6, 1, v4
	v_subrev_u32_e32 v5, s18, v3
	v_cmp_le_u32_e32 vcc, s18, v3
	v_cndmask_b32_e32 v3, v3, v5, vcc
	v_cndmask_b32_e32 v4, v4, v6, vcc
	v_add_u32_e32 v5, 1, v4
	v_cmp_le_u32_e32 vcc, s18, v3
	v_cndmask_b32_e32 v6, v4, v5, vcc
.LBB26_5:
	s_or_b64 exec, exec, s[0:1]
	v_add_co_u32_e32 v2, vcc, v6, v2
	v_addc_co_u32_e32 v3, vcc, 0, v7, vcc
	v_add_co_u32_e32 v2, vcc, 1, v2
	v_addc_co_u32_e32 v3, vcc, 0, v3, vcc
	s_mul_i32 s4, s6, s2
	s_mov_b32 s7, 0
	v_cmp_lt_u64_e32 vcc, 1, v[2:3]
	v_cmp_eq_u16_e64 s[0:1], s18, 1
	s_lshl_b32 s6, s4, 1
	s_mov_b32 s5, s7
	s_and_b64 s[14:15], vcc, s[0:1]
	s_mov_b64 s[0:1], -1
	s_and_saveexec_b64 s[12:13], s[14:15]
	s_cbranch_execz .LBB26_9
; %bb.6:
	s_lshl_b64 s[0:1], s[6:7], 2
	s_waitcnt lgkmcnt(0)
	s_add_u32 s0, s10, s0
	v_lshlrev_b32_e32 v6, 2, v0
	s_addc_u32 s1, s11, s1
	v_mov_b32_e32 v7, s1
	v_add_co_u32_e32 v12, vcc, s0, v6
	v_addc_co_u32_e32 v13, vcc, 0, v7, vcc
	s_lshl_b64 s[0:1], s[2:3], 2
	s_lshl_b32 s20, s18, 3
	v_mov_b32_e32 v7, s1
	v_add_co_u32_e32 v14, vcc, s0, v12
	s_lshl_b64 s[0:1], s[4:5], 2
	s_add_u32 s0, s8, s0
	v_addc_co_u32_e32 v15, vcc, v13, v7, vcc
	s_addc_u32 s1, s9, s1
	v_and_b32_e32 v4, -2, v2
	v_mov_b32_e32 v5, v3
	v_mov_b32_e32 v7, s1
	v_add_co_u32_e32 v16, vcc, s0, v6
	v_addc_co_u32_e32 v17, vcc, 0, v7, vcc
	s_mov_b64 s[14:15], 0
	s_mov_b32 s21, 0xbfb8aa3b
	s_mov_b32 s22, 0x42ce8ed0
	;; [unrolled: 1-line block ×3, first 2 shown]
	v_mov_b32_e32 v18, 0x7f800000
	s_mov_b64 s[16:17], 0
	v_pk_mov_b32 v[6:7], v[4:5], v[4:5] op_sel:[0,1]
.LBB26_7:                               ; =>This Inner Loop Header: Depth=1
	v_mov_b32_e32 v19, s17
	v_add_co_u32_e32 v20, vcc, s16, v14
	v_add_co_u32_e64 v22, s[0:1], s16, v12
	v_addc_co_u32_e32 v21, vcc, v15, v19, vcc
	v_addc_co_u32_e64 v23, s[0:1], v13, v19, s[0:1]
	global_load_dwordx2 v[10:11], v[20:21], off
	global_load_dwordx2 v[8:9], v[22:23], off
	v_add_co_u32_e32 v6, vcc, -2, v6
	v_addc_co_u32_e32 v7, vcc, -1, v7, vcc
	v_add_co_u32_e32 v20, vcc, s16, v16
	v_addc_co_u32_e32 v21, vcc, v17, v19, vcc
	s_add_u32 s16, s16, s20
	s_addc_u32 s17, s17, 0
	v_cmp_eq_u64_e32 vcc, 0, v[6:7]
	s_or_b64 s[14:15], vcc, s[14:15]
	s_waitcnt vmcnt(1)
	v_mul_f32_e32 v19, 0xbfb8aa3b, v11
	v_mul_f32_e32 v22, 0xbfb8aa3b, v10
	v_fma_f32 v23, v11, s21, -v19
	v_rndne_f32_e32 v24, v19
	v_fma_f32 v25, v10, s21, -v22
	v_rndne_f32_e32 v26, v22
	v_fmac_f32_e32 v23, 0xb2a5705f, v11
	v_sub_f32_e32 v19, v19, v24
	v_fmac_f32_e32 v25, 0xb2a5705f, v10
	v_sub_f32_e32 v22, v22, v26
	v_add_f32_e32 v19, v19, v23
	v_add_f32_e32 v22, v22, v25
	v_cvt_i32_f32_e32 v24, v24
	v_cvt_i32_f32_e32 v26, v26
	v_exp_f32_e32 v19, v19
	v_exp_f32_e32 v22, v22
	v_cmp_nlt_f32_e32 vcc, s22, v10
	v_cmp_nlt_f32_e64 s[0:1], s22, v11
	v_ldexp_f32 v19, v19, v24
	v_ldexp_f32 v22, v22, v26
	v_cndmask_b32_e64 v19, 0, v19, s[0:1]
	v_cndmask_b32_e32 v22, 0, v22, vcc
	v_cmp_ngt_f32_e32 vcc, s23, v10
	v_cmp_ngt_f32_e64 s[0:1], s23, v11
	v_cndmask_b32_e64 v23, v18, v19, s[0:1]
	v_cndmask_b32_e32 v22, v18, v22, vcc
	v_pk_add_f32 v[22:23], v[22:23], 1.0 op_sel_hi:[1,0]
	v_div_scale_f32 v19, s[0:1], v23, v23, v11
	v_div_scale_f32 v25, s[0:1], v22, v22, v10
	v_rcp_f32_e32 v27, v19
	v_rcp_f32_e32 v28, v25
	v_div_scale_f32 v24, vcc, v11, v23, v11
	v_fma_f32 v29, -v19, v27, 1.0
	v_fma_f32 v30, -v25, v28, 1.0
	v_fmac_f32_e32 v27, v29, v27
	v_div_scale_f32 v26, s[0:1], v10, v22, v10
	v_fmac_f32_e32 v28, v30, v28
	v_mul_f32_e32 v29, v24, v27
	v_mul_f32_e32 v30, v26, v28
	v_fma_f32 v31, -v19, v29, v24
	v_fma_f32 v32, -v25, v30, v26
	v_fmac_f32_e32 v29, v31, v27
	v_fmac_f32_e32 v30, v32, v28
	v_fma_f32 v19, -v19, v29, v24
	v_fma_f32 v24, -v25, v30, v26
	v_div_fmas_f32 v19, v19, v27, v29
	s_mov_b64 vcc, s[0:1]
	v_div_fixup_f32 v11, v19, v23, v11
	v_div_fmas_f32 v19, v24, v28, v30
	v_div_fixup_f32 v10, v19, v22, v10
	s_waitcnt vmcnt(0)
	v_pk_mul_f32 v[8:9], v[8:9], v[10:11]
	global_store_dwordx2 v[20:21], v[8:9], off
	s_andn2_b64 exec, exec, s[14:15]
	s_cbranch_execnz .LBB26_7
; %bb.8:
	s_or_b64 exec, exec, s[14:15]
	v_mad_u64_u32 v[0:1], s[0:1], v4, s18, v[0:1]
	v_mov_b32_e32 v6, v1
	v_mad_u64_u32 v[6:7], s[0:1], v5, s18, v[6:7]
	v_cmp_ne_u64_e32 vcc, v[2:3], v[4:5]
	v_mov_b32_e32 v1, v6
	s_orn2_b64 s[0:1], vcc, exec
.LBB26_9:
	s_or_b64 exec, exec, s[12:13]
	s_and_b64 exec, exec, s[0:1]
	s_cbranch_execz .LBB26_12
; %bb.10:
	s_lshl_b64 s[0:1], s[6:7], 2
	s_waitcnt lgkmcnt(0)
	s_add_u32 s6, s10, s0
	s_addc_u32 s10, s11, s1
	s_lshl_b64 s[0:1], s[2:3], 2
	s_add_u32 s7, s6, s0
	s_addc_u32 s11, s10, s1
	s_lshl_b64 s[0:1], s[4:5], 2
	s_add_u32 s4, s8, s0
	s_addc_u32 s12, s9, s1
	s_mov_b32 s13, 0
	v_lshlrev_b64 v[2:3], 2, v[0:1]
	s_lshl_b32 s5, s18, 2
	s_mov_b64 s[0:1], 0
	v_mov_b32_e32 v4, s10
	v_mov_b32_e32 v5, s11
	s_mov_b32 s8, 0xbfb8aa3b
	s_mov_b32 s9, 0x42ce8ed0
	;; [unrolled: 1-line block ×3, first 2 shown]
	v_mov_b32_e32 v6, 0x7f800000
	v_mov_b32_e32 v7, s12
	;; [unrolled: 1-line block ×4, first 2 shown]
.LBB26_11:                              ; =>This Inner Loop Header: Depth=1
	v_add_co_u32_e32 v10, vcc, s6, v2
	v_addc_co_u32_e32 v11, vcc, v4, v3, vcc
	v_add_co_u32_e32 v12, vcc, s7, v2
	v_addc_co_u32_e32 v13, vcc, v5, v3, vcc
	global_load_dword v14, v[12:13], off
	global_load_dword v15, v[10:11], off
	v_add_co_u32_e32 v10, vcc, s4, v2
	v_addc_co_u32_e32 v11, vcc, v7, v3, vcc
	v_add_co_u32_e32 v0, vcc, s18, v0
	v_addc_co_u32_e32 v1, vcc, v1, v8, vcc
	v_add_co_u32_e32 v2, vcc, s5, v2
	v_addc_co_u32_e32 v3, vcc, v3, v9, vcc
	v_cmp_le_i64_e32 vcc, s[2:3], v[0:1]
	s_or_b64 s[0:1], vcc, s[0:1]
	s_waitcnt vmcnt(1)
	v_mul_f32_e32 v12, 0xbfb8aa3b, v14
	v_fma_f32 v13, v14, s8, -v12
	v_rndne_f32_e32 v16, v12
	v_fmac_f32_e32 v13, 0xb2a5705f, v14
	v_sub_f32_e32 v12, v12, v16
	v_add_f32_e32 v12, v12, v13
	v_cvt_i32_f32_e32 v16, v16
	v_exp_f32_e32 v12, v12
	v_cmp_nlt_f32_e32 vcc, s9, v14
	v_ldexp_f32 v12, v12, v16
	v_cndmask_b32_e32 v12, 0, v12, vcc
	v_cmp_ngt_f32_e32 vcc, s10, v14
	v_cndmask_b32_e32 v12, v6, v12, vcc
	v_add_f32_e32 v12, 1.0, v12
	v_div_scale_f32 v13, s[12:13], v12, v12, v14
	v_rcp_f32_e32 v16, v13
	v_div_scale_f32 v17, vcc, v14, v12, v14
	v_fma_f32 v18, -v13, v16, 1.0
	v_fmac_f32_e32 v16, v18, v16
	v_mul_f32_e32 v18, v17, v16
	v_fma_f32 v19, -v13, v18, v17
	v_fmac_f32_e32 v18, v19, v16
	v_fma_f32 v13, -v13, v18, v17
	v_div_fmas_f32 v13, v13, v16, v18
	v_div_fixup_f32 v12, v13, v12, v14
	s_waitcnt vmcnt(0)
	v_mul_f32_e32 v12, v15, v12
	global_store_dword v[10:11], v12, off
	s_andn2_b64 exec, exec, s[0:1]
	s_cbranch_execnz .LBB26_11
.LBB26_12:
	s_endpgm
	.section	.rodata,"a",@progbits
	.p2align	6, 0x0
	.amdhsa_kernel _ZN4vllm18act_and_mul_kernelIf15HIP_vector_typeIfLj2EETnPFT_RKS3_EXadL_ZNS_11silu_kernelIfEES3_S5_EETnPFT0_RKS9_EXadL_ZNS_18packed_silu_kernelIS2_EES3_S5_EELb0ELb0ELb0ELb0EEEvPS3_PS4_if
		.amdhsa_group_segment_fixed_size 0
		.amdhsa_private_segment_fixed_size 0
		.amdhsa_kernarg_size 280
		.amdhsa_user_sgpr_count 6
		.amdhsa_user_sgpr_private_segment_buffer 1
		.amdhsa_user_sgpr_dispatch_ptr 0
		.amdhsa_user_sgpr_queue_ptr 0
		.amdhsa_user_sgpr_kernarg_segment_ptr 1
		.amdhsa_user_sgpr_dispatch_id 0
		.amdhsa_user_sgpr_flat_scratch_init 0
		.amdhsa_user_sgpr_kernarg_preload_length 0
		.amdhsa_user_sgpr_kernarg_preload_offset 0
		.amdhsa_user_sgpr_private_segment_size 0
		.amdhsa_uses_dynamic_stack 0
		.amdhsa_system_sgpr_private_segment_wavefront_offset 0
		.amdhsa_system_sgpr_workgroup_id_x 1
		.amdhsa_system_sgpr_workgroup_id_y 0
		.amdhsa_system_sgpr_workgroup_id_z 0
		.amdhsa_system_sgpr_workgroup_info 0
		.amdhsa_system_vgpr_workitem_id 0
		.amdhsa_next_free_vgpr 33
		.amdhsa_next_free_sgpr 24
		.amdhsa_accum_offset 36
		.amdhsa_reserve_vcc 1
		.amdhsa_reserve_flat_scratch 0
		.amdhsa_float_round_mode_32 0
		.amdhsa_float_round_mode_16_64 0
		.amdhsa_float_denorm_mode_32 3
		.amdhsa_float_denorm_mode_16_64 3
		.amdhsa_dx10_clamp 1
		.amdhsa_ieee_mode 1
		.amdhsa_fp16_overflow 0
		.amdhsa_tg_split 0
		.amdhsa_exception_fp_ieee_invalid_op 0
		.amdhsa_exception_fp_denorm_src 0
		.amdhsa_exception_fp_ieee_div_zero 0
		.amdhsa_exception_fp_ieee_overflow 0
		.amdhsa_exception_fp_ieee_underflow 0
		.amdhsa_exception_fp_ieee_inexact 0
		.amdhsa_exception_int_div_zero 0
	.end_amdhsa_kernel
	.section	.text._ZN4vllm18act_and_mul_kernelIf15HIP_vector_typeIfLj2EETnPFT_RKS3_EXadL_ZNS_11silu_kernelIfEES3_S5_EETnPFT0_RKS9_EXadL_ZNS_18packed_silu_kernelIS2_EES3_S5_EELb0ELb0ELb0ELb0EEEvPS3_PS4_if,"axG",@progbits,_ZN4vllm18act_and_mul_kernelIf15HIP_vector_typeIfLj2EETnPFT_RKS3_EXadL_ZNS_11silu_kernelIfEES3_S5_EETnPFT0_RKS9_EXadL_ZNS_18packed_silu_kernelIS2_EES3_S5_EELb0ELb0ELb0ELb0EEEvPS3_PS4_if,comdat
.Lfunc_end26:
	.size	_ZN4vllm18act_and_mul_kernelIf15HIP_vector_typeIfLj2EETnPFT_RKS3_EXadL_ZNS_11silu_kernelIfEES3_S5_EETnPFT0_RKS9_EXadL_ZNS_18packed_silu_kernelIS2_EES3_S5_EELb0ELb0ELb0ELb0EEEvPS3_PS4_if, .Lfunc_end26-_ZN4vllm18act_and_mul_kernelIf15HIP_vector_typeIfLj2EETnPFT_RKS3_EXadL_ZNS_11silu_kernelIfEES3_S5_EETnPFT0_RKS9_EXadL_ZNS_18packed_silu_kernelIS2_EES3_S5_EELb0ELb0ELb0ELb0EEEvPS3_PS4_if
                                        ; -- End function
	.section	.AMDGPU.csdata,"",@progbits
; Kernel info:
; codeLenInByte = 1800
; NumSgprs: 28
; NumVgprs: 33
; NumAgprs: 0
; TotalNumVgprs: 33
; ScratchSize: 0
; MemoryBound: 0
; FloatMode: 240
; IeeeMode: 1
; LDSByteSize: 0 bytes/workgroup (compile time only)
; SGPRBlocks: 3
; VGPRBlocks: 4
; NumSGPRsForWavesPerEU: 28
; NumVGPRsForWavesPerEU: 33
; AccumOffset: 36
; Occupancy: 8
; WaveLimiterHint : 0
; COMPUTE_PGM_RSRC2:SCRATCH_EN: 0
; COMPUTE_PGM_RSRC2:USER_SGPR: 6
; COMPUTE_PGM_RSRC2:TRAP_HANDLER: 0
; COMPUTE_PGM_RSRC2:TGID_X_EN: 1
; COMPUTE_PGM_RSRC2:TGID_Y_EN: 0
; COMPUTE_PGM_RSRC2:TGID_Z_EN: 0
; COMPUTE_PGM_RSRC2:TIDIG_COMP_CNT: 0
; COMPUTE_PGM_RSRC3_GFX90A:ACCUM_OFFSET: 8
; COMPUTE_PGM_RSRC3_GFX90A:TG_SPLIT: 0
	.section	.text._ZN4vllm18act_and_mul_kernelIN3c104HalfE7__half2TnPFT_RKS4_EXadL_ZNS_11silu_kernelIS2_EES4_S6_EETnPFT0_RKSA_EXadL_ZNS_18packed_silu_kernelIS3_EES4_S6_EELb0ELb0ELb0ELb0EEEvPS4_PS5_if,"axG",@progbits,_ZN4vllm18act_and_mul_kernelIN3c104HalfE7__half2TnPFT_RKS4_EXadL_ZNS_11silu_kernelIS2_EES4_S6_EETnPFT0_RKSA_EXadL_ZNS_18packed_silu_kernelIS3_EES4_S6_EELb0ELb0ELb0ELb0EEEvPS4_PS5_if,comdat
	.protected	_ZN4vllm18act_and_mul_kernelIN3c104HalfE7__half2TnPFT_RKS4_EXadL_ZNS_11silu_kernelIS2_EES4_S6_EETnPFT0_RKSA_EXadL_ZNS_18packed_silu_kernelIS3_EES4_S6_EELb0ELb0ELb0ELb0EEEvPS4_PS5_if ; -- Begin function _ZN4vllm18act_and_mul_kernelIN3c104HalfE7__half2TnPFT_RKS4_EXadL_ZNS_11silu_kernelIS2_EES4_S6_EETnPFT0_RKSA_EXadL_ZNS_18packed_silu_kernelIS3_EES4_S6_EELb0ELb0ELb0ELb0EEEvPS4_PS5_if
	.globl	_ZN4vllm18act_and_mul_kernelIN3c104HalfE7__half2TnPFT_RKS4_EXadL_ZNS_11silu_kernelIS2_EES4_S6_EETnPFT0_RKSA_EXadL_ZNS_18packed_silu_kernelIS3_EES4_S6_EELb0ELb0ELb0ELb0EEEvPS4_PS5_if
	.p2align	8
	.type	_ZN4vllm18act_and_mul_kernelIN3c104HalfE7__half2TnPFT_RKS4_EXadL_ZNS_11silu_kernelIS2_EES4_S6_EETnPFT0_RKSA_EXadL_ZNS_18packed_silu_kernelIS3_EES4_S6_EELb0ELb0ELb0ELb0EEEvPS4_PS5_if,@function
_ZN4vllm18act_and_mul_kernelIN3c104HalfE7__half2TnPFT_RKS4_EXadL_ZNS_11silu_kernelIS2_EES4_S6_EETnPFT0_RKSA_EXadL_ZNS_18packed_silu_kernelIS3_EES4_S6_EELb0ELb0ELb0ELb0EEEvPS4_PS5_if: ; @_ZN4vllm18act_and_mul_kernelIN3c104HalfE7__half2TnPFT_RKS4_EXadL_ZNS_11silu_kernelIS2_EES4_S6_EETnPFT0_RKSA_EXadL_ZNS_18packed_silu_kernelIS3_EES4_S6_EELb0ELb0ELb0ELb0EEEvPS4_PS5_if
; %bb.0:
	s_load_dword s12, s[4:5], 0x10
	s_waitcnt lgkmcnt(0)
	v_cmp_gt_i32_e32 vcc, s12, v0
	s_and_saveexec_b64 s[0:1], vcc
	s_cbranch_execz .LBB27_12
; %bb.1:
	s_load_dword s0, s[4:5], 0x24
	s_ashr_i32 s13, s12, 31
	v_mov_b32_e32 v2, s13
	v_mov_b32_e32 v1, 0
	s_mov_b32 s25, 0
	s_waitcnt lgkmcnt(0)
	s_and_b32 s24, s0, 0xffff
	v_add_co_u32_e32 v4, vcc, s24, v0
	v_addc_co_u32_e64 v5, s[0:1], 0, 0, vcc
	v_cmp_lt_i64_e32 vcc, s[12:13], v[4:5]
	v_cndmask_b32_e32 v6, v2, v5, vcc
	v_mov_b32_e32 v2, s12
	v_cndmask_b32_e32 v3, v2, v4, vcc
	v_cmp_gt_i64_e32 vcc, s[12:13], v[4:5]
	v_cndmask_b32_e64 v2, 0, 1, vcc
	v_add_co_u32_e32 v4, vcc, v4, v2
	v_addc_co_u32_e32 v5, vcc, 0, v5, vcc
	v_sub_co_u32_e32 v3, vcc, v3, v4
	v_subb_co_u32_e32 v5, vcc, v6, v5, vcc
	v_mov_b32_e32 v4, v1
	v_cmp_ne_u64_e32 vcc, 0, v[4:5]
                                        ; implicit-def: $vgpr6_vgpr7
	s_and_saveexec_b64 s[0:1], vcc
	s_xor_b64 s[2:3], exec, s[0:1]
	s_cbranch_execz .LBB27_3
; %bb.2:
	v_cvt_f32_u32_e32 v4, s24
	v_mov_b32_e32 v6, 0x4f800000
	s_sub_u32 s0, 0, s24
	s_subb_u32 s1, 0, 0
	v_mac_f32_e32 v4, 0, v6
	v_rcp_f32_e32 v4, v4
	v_mul_f32_e32 v4, 0x5f7ffffc, v4
	v_mul_f32_e32 v6, 0x2f800000, v4
	v_trunc_f32_e32 v6, v6
	v_madmk_f32 v4, v6, 0xcf800000, v4
	v_cvt_u32_f32_e32 v6, v6
	v_cvt_u32_f32_e32 v4, v4
	v_mul_lo_u32 v7, s0, v6
	v_mul_hi_u32 v9, s0, v4
	v_mul_lo_u32 v8, s1, v4
	v_add_u32_e32 v7, v9, v7
	v_mul_lo_u32 v10, s0, v4
	v_add_u32_e32 v7, v7, v8
	v_mul_hi_u32 v9, v4, v10
	v_mul_lo_u32 v11, v4, v7
	v_mul_hi_u32 v8, v4, v7
	v_add_co_u32_e32 v9, vcc, v9, v11
	v_addc_co_u32_e32 v8, vcc, 0, v8, vcc
	v_mul_hi_u32 v12, v6, v10
	v_mul_lo_u32 v10, v6, v10
	v_add_co_u32_e32 v9, vcc, v9, v10
	v_mul_hi_u32 v11, v6, v7
	v_addc_co_u32_e32 v8, vcc, v8, v12, vcc
	v_addc_co_u32_e32 v9, vcc, 0, v11, vcc
	v_mul_lo_u32 v7, v6, v7
	v_add_co_u32_e32 v7, vcc, v8, v7
	v_addc_co_u32_e32 v8, vcc, 0, v9, vcc
	v_add_co_u32_e32 v4, vcc, v4, v7
	v_addc_co_u32_e32 v6, vcc, v6, v8, vcc
	v_mul_lo_u32 v7, s0, v6
	v_mul_hi_u32 v8, s0, v4
	v_add_u32_e32 v7, v8, v7
	v_mul_lo_u32 v8, s1, v4
	v_add_u32_e32 v7, v7, v8
	v_mul_lo_u32 v9, s0, v4
	v_mul_hi_u32 v10, v6, v9
	v_mul_lo_u32 v11, v6, v9
	v_mul_lo_u32 v13, v4, v7
	v_mul_hi_u32 v9, v4, v9
	v_mul_hi_u32 v12, v4, v7
	v_add_co_u32_e32 v9, vcc, v9, v13
	v_addc_co_u32_e32 v12, vcc, 0, v12, vcc
	v_add_co_u32_e32 v9, vcc, v9, v11
	v_mul_hi_u32 v8, v6, v7
	v_addc_co_u32_e32 v9, vcc, v12, v10, vcc
	v_addc_co_u32_e32 v8, vcc, 0, v8, vcc
	v_mul_lo_u32 v7, v6, v7
	v_add_co_u32_e32 v7, vcc, v9, v7
	v_addc_co_u32_e32 v8, vcc, 0, v8, vcc
	v_add_co_u32_e32 v4, vcc, v4, v7
	v_addc_co_u32_e32 v8, vcc, v6, v8, vcc
	v_mad_u64_u32 v[6:7], s[0:1], v3, v8, 0
	v_mul_hi_u32 v9, v3, v4
	v_add_co_u32_e32 v10, vcc, v9, v6
	v_addc_co_u32_e32 v11, vcc, 0, v7, vcc
	v_mad_u64_u32 v[6:7], s[0:1], v5, v8, 0
	v_mad_u64_u32 v[8:9], s[0:1], v5, v4, 0
	v_add_co_u32_e32 v4, vcc, v10, v8
	v_addc_co_u32_e32 v4, vcc, v11, v9, vcc
	v_addc_co_u32_e32 v7, vcc, 0, v7, vcc
	v_add_co_u32_e32 v10, vcc, v4, v6
	v_addc_co_u32_e32 v11, vcc, 0, v7, vcc
	v_mad_u64_u32 v[6:7], s[0:1], s24, v10, 0
	v_mov_b32_e32 v4, v7
	v_mad_u64_u32 v[8:9], s[0:1], s24, v11, v[4:5]
	v_sub_co_u32_e32 v3, vcc, v3, v6
	v_subb_co_u32_e32 v4, vcc, v5, v8, vcc
	v_subrev_co_u32_e32 v5, vcc, s24, v3
	v_subbrev_co_u32_e32 v6, vcc, 0, v4, vcc
	v_cmp_le_u32_e32 vcc, s24, v5
	v_cndmask_b32_e64 v5, 0, -1, vcc
	v_cmp_eq_u32_e32 vcc, 0, v6
	v_cndmask_b32_e32 v5, -1, v5, vcc
	v_add_co_u32_e32 v6, vcc, 2, v10
	v_addc_co_u32_e32 v7, vcc, 0, v11, vcc
	v_add_co_u32_e32 v8, vcc, 1, v10
	v_cmp_le_u32_e64 s[0:1], s24, v3
	v_addc_co_u32_e32 v9, vcc, 0, v11, vcc
	v_cndmask_b32_e64 v3, 0, -1, s[0:1]
	v_cmp_eq_u32_e64 s[0:1], 0, v4
	v_cmp_ne_u32_e32 vcc, 0, v5
	v_cndmask_b32_e64 v3, -1, v3, s[0:1]
	v_cndmask_b32_e32 v5, v9, v7, vcc
	v_cmp_ne_u32_e64 s[0:1], 0, v3
	v_cndmask_b32_e32 v3, v8, v6, vcc
	v_cndmask_b32_e64 v7, v11, v5, s[0:1]
	v_cndmask_b32_e64 v6, v10, v3, s[0:1]
                                        ; implicit-def: $vgpr3
.LBB27_3:
	s_or_saveexec_b64 s[0:1], s[2:3]
	s_load_dwordx4 s[8:11], s[4:5], 0x0
	s_xor_b64 exec, exec, s[0:1]
	s_cbranch_execz .LBB27_5
; %bb.4:
	v_cvt_f32_u32_e32 v4, s24
	s_sub_i32 s2, 0, s24
	v_mov_b32_e32 v7, 0
	v_rcp_iflag_f32_e32 v4, v4
	v_mul_f32_e32 v4, 0x4f7ffffe, v4
	v_cvt_u32_f32_e32 v4, v4
	v_mul_lo_u32 v5, s2, v4
	v_mul_hi_u32 v5, v4, v5
	v_add_u32_e32 v4, v4, v5
	v_mul_hi_u32 v4, v3, v4
	v_mul_lo_u32 v5, v4, s24
	v_sub_u32_e32 v3, v3, v5
	v_add_u32_e32 v6, 1, v4
	v_subrev_u32_e32 v5, s24, v3
	v_cmp_le_u32_e32 vcc, s24, v3
	v_cndmask_b32_e32 v3, v3, v5, vcc
	v_cndmask_b32_e32 v4, v4, v6, vcc
	v_add_u32_e32 v5, 1, v4
	v_cmp_le_u32_e32 vcc, s24, v3
	v_cndmask_b32_e32 v6, v4, v5, vcc
.LBB27_5:
	s_or_b64 exec, exec, s[0:1]
	v_add_co_u32_e32 v2, vcc, v6, v2
	v_addc_co_u32_e32 v3, vcc, 0, v7, vcc
	v_add_co_u32_e32 v2, vcc, 1, v2
	v_addc_co_u32_e32 v3, vcc, 0, v3, vcc
	s_mul_i32 s14, s6, s12
	s_mov_b32 s17, 0
	v_cmp_lt_u64_e32 vcc, 3, v[2:3]
	v_cmp_eq_u16_e64 s[0:1], s24, 1
	s_lshl_b32 s16, s14, 1
	s_mov_b32 s15, s17
	s_and_b64 s[2:3], vcc, s[0:1]
	s_mov_b64 s[0:1], -1
	s_and_saveexec_b64 s[18:19], s[2:3]
	s_cbranch_execz .LBB27_9
; %bb.6:
	s_lshl_b64 s[0:1], s[16:17], 1
	s_waitcnt lgkmcnt(0)
	s_add_u32 s0, s10, s0
	v_lshlrev_b32_e32 v6, 1, v0
	s_addc_u32 s1, s11, s1
	v_mov_b32_e32 v7, s1
	v_add_co_u32_e32 v12, vcc, s0, v6
	v_addc_co_u32_e32 v13, vcc, 0, v7, vcc
	s_lshl_b64 s[0:1], s[12:13], 1
	s_lshl_b32 s26, s24, 3
	v_mov_b32_e32 v7, s1
	v_add_co_u32_e32 v14, vcc, s0, v12
	s_lshl_b64 s[0:1], s[14:15], 1
	s_add_u32 s0, s8, s0
	v_addc_co_u32_e32 v15, vcc, v13, v7, vcc
	s_addc_u32 s1, s9, s1
	v_and_b32_e32 v4, -4, v2
	v_mov_b32_e32 v5, v3
	v_mov_b32_e32 v7, s1
	v_add_co_u32_e32 v16, vcc, s0, v6
	v_addc_co_u32_e32 v17, vcc, 0, v7, vcc
	s_mov_b64 s[20:21], 0
	s_mov_b32 s27, 0x3fb8aa3b
	s_mov_b32 s28, 0x32a5705f
	;; [unrolled: 1-line block ×4, first 2 shown]
	v_mov_b32_e32 v18, 0x7f800000
	s_mov_b64 s[22:23], 0
	v_pk_mov_b32 v[6:7], v[4:5], v[4:5] op_sel:[0,1]
.LBB27_7:                               ; =>This Inner Loop Header: Depth=1
	v_add_co_u32_e64 v6, s[2:3], -4, v6
	v_mov_b32_e32 v11, s23
	v_add_co_u32_e32 v8, vcc, s22, v14
	v_addc_co_u32_e64 v7, s[2:3], -1, v7, s[2:3]
	v_add_co_u32_e64 v20, s[2:3], s22, v12
	v_addc_co_u32_e32 v9, vcc, v15, v11, vcc
	v_addc_co_u32_e64 v21, s[2:3], v13, v11, s[2:3]
	global_load_dwordx2 v[22:23], v[8:9], off
	global_load_dwordx2 v[24:25], v[20:21], off
	v_add_co_u32_e64 v10, s[0:1], s22, v16
	v_addc_co_u32_e64 v11, vcc, v17, v11, s[0:1]
	s_add_u32 s22, s22, s26
	s_addc_u32 s23, s23, 0
	v_cmp_eq_u64_e64 s[0:1], 0, v[6:7]
	s_or_b64 s[20:21], s[0:1], s[20:21]
	s_waitcnt vmcnt(1)
	v_cvt_f32_f16_e64 v8, -v23
	v_cvt_f32_f16_sdwa v9, -v23 dst_sel:DWORD dst_unused:UNUSED_PAD src0_sel:WORD_1
	v_cvt_f32_f16_e64 v20, -v22
	v_cvt_f32_f16_sdwa v21, -v22 dst_sel:DWORD dst_unused:UNUSED_PAD src0_sel:WORD_1
	v_mul_f32_e32 v29, 0x3fb8aa3b, v8
	v_mul_f32_e32 v30, 0x3fb8aa3b, v9
	v_fma_mix_f32 v33, -v23, s27, -v29 op_sel_hi:[1,0,0]
	v_rndne_f32_e32 v34, v29
	v_fma_mix_f32 v35, -v23, s27, -v30 op_sel:[1,0,0] op_sel_hi:[1,0,0]
	v_rndne_f32_e32 v36, v30
	v_cvt_f32_f16_sdwa v27, v23 dst_sel:DWORD dst_unused:UNUSED_PAD src0_sel:WORD_1
	v_cvt_f32_f16_e32 v28, v23
	v_mul_f32_e32 v31, 0x3fb8aa3b, v20
	v_mul_f32_e32 v32, 0x3fb8aa3b, v21
	v_fma_mix_f32 v33, -v23, s28, v33 op_sel_hi:[1,0,0]
	v_sub_f32_e32 v29, v29, v34
	v_fma_mix_f32 v23, -v23, s28, v35 op_sel:[1,0,0] op_sel_hi:[1,0,0]
	v_sub_f32_e32 v30, v30, v36
	v_fma_mix_f32 v37, -v22, s27, -v31 op_sel_hi:[1,0,0]
	v_rndne_f32_e32 v38, v31
	v_fma_mix_f32 v39, -v22, s27, -v32 op_sel:[1,0,0] op_sel_hi:[1,0,0]
	v_rndne_f32_e32 v40, v32
	v_add_f32_e32 v29, v29, v33
	v_add_f32_e32 v23, v30, v23
	v_cvt_f32_f16_sdwa v19, v22 dst_sel:DWORD dst_unused:UNUSED_PAD src0_sel:WORD_1
	v_cvt_f32_f16_e32 v26, v22
	v_cvt_i32_f32_e32 v34, v34
	v_cvt_i32_f32_e32 v35, v36
	v_fma_mix_f32 v36, -v22, s28, v37 op_sel_hi:[1,0,0]
	v_sub_f32_e32 v31, v31, v38
	v_fma_mix_f32 v22, -v22, s28, v39 op_sel:[1,0,0] op_sel_hi:[1,0,0]
	v_sub_f32_e32 v32, v32, v40
	v_exp_f32_e32 v29, v29
	v_exp_f32_e32 v23, v23
	v_add_f32_e32 v30, v31, v36
	v_add_f32_e32 v22, v32, v22
	v_cvt_i32_f32_e32 v37, v38
	v_cvt_i32_f32_e32 v38, v40
	v_exp_f32_e32 v30, v30
	v_exp_f32_e32 v22, v22
	v_ldexp_f32 v29, v29, v34
	v_ldexp_f32 v23, v23, v35
	v_cmp_ngt_f32_e32 vcc, s29, v9
	v_cmp_ngt_f32_e64 s[6:7], s29, v8
	v_cndmask_b32_e64 v29, 0, v29, s[6:7]
	v_cndmask_b32_e32 v23, 0, v23, vcc
	v_cmp_nlt_f32_e32 vcc, s30, v9
	v_cmp_nlt_f32_e64 s[6:7], s30, v8
	v_ldexp_f32 v30, v30, v37
	v_cmp_ngt_f32_e64 s[2:3], s29, v20
	v_ldexp_f32 v22, v22, v38
	v_cmp_ngt_f32_e64 s[4:5], s29, v21
	v_cndmask_b32_e64 v8, v18, v29, s[6:7]
	v_cndmask_b32_e32 v9, v18, v23, vcc
	v_cndmask_b32_e64 v30, 0, v30, s[2:3]
	v_cmp_nlt_f32_e64 s[2:3], s30, v20
	v_cndmask_b32_e64 v22, 0, v22, s[4:5]
	v_cmp_nlt_f32_e64 s[4:5], s30, v21
	v_pk_add_f32 v[8:9], v[8:9], 1.0 op_sel_hi:[1,0]
	v_cndmask_b32_e64 v20, v18, v30, s[2:3]
	v_cndmask_b32_e64 v21, v18, v22, s[4:5]
	v_div_scale_f32 v22, s[2:3], v8, v8, v28
	v_pk_add_f32 v[20:21], v[20:21], 1.0 op_sel_hi:[1,0]
	v_div_scale_f32 v29, s[2:3], v9, v9, v27
	v_rcp_f32_e32 v35, v22
	v_div_scale_f32 v31, s[4:5], v20, v20, v26
	v_rcp_f32_e32 v36, v29
	;; [unrolled: 2-line block ×3, first 2 shown]
	v_rcp_f32_e32 v38, v33
	v_fma_f32 v39, -v22, v35, 1.0
	v_div_scale_f32 v23, vcc, v28, v8, v28
	v_fma_f32 v40, -v29, v36, 1.0
	v_fmac_f32_e32 v35, v39, v35
	v_div_scale_f32 v30, s[2:3], v27, v9, v27
	v_fma_f32 v41, -v31, v37, 1.0
	v_fmac_f32_e32 v36, v40, v36
	v_mul_f32_e32 v39, v23, v35
	v_div_scale_f32 v32, s[4:5], v26, v20, v26
	v_fma_f32 v42, -v33, v38, 1.0
	v_fmac_f32_e32 v37, v41, v37
	v_mul_f32_e32 v40, v30, v36
	v_fma_f32 v43, -v22, v39, v23
	v_div_scale_f32 v34, s[6:7], v19, v21, v19
	v_fmac_f32_e32 v38, v42, v38
	v_mul_f32_e32 v41, v32, v37
	v_fma_f32 v44, -v29, v40, v30
	v_fmac_f32_e32 v39, v43, v35
	v_mul_f32_e32 v42, v34, v38
	v_fma_f32 v45, -v31, v41, v32
	v_fmac_f32_e32 v40, v44, v36
	v_fma_f32 v22, -v22, v39, v23
	v_fma_f32 v46, -v33, v42, v34
	v_fmac_f32_e32 v41, v45, v37
	v_fma_f32 v23, -v29, v40, v30
	v_div_fmas_f32 v22, v22, v35, v39
	s_mov_b64 vcc, s[2:3]
	v_fmac_f32_e32 v42, v46, v38
	v_fma_f32 v29, -v31, v41, v32
	v_div_fixup_f32 v8, v22, v8, v28
	v_div_fmas_f32 v22, v23, v36, v40
	s_mov_b64 vcc, s[4:5]
	v_fma_f32 v30, -v33, v42, v34
	v_div_fixup_f32 v9, v22, v9, v27
	v_div_fmas_f32 v22, v29, v37, v41
	s_mov_b64 vcc, s[6:7]
	v_div_fixup_f32 v20, v22, v20, v26
	v_div_fmas_f32 v22, v30, v38, v42
	v_cvt_f16_f32_e32 v8, v8
	v_cvt_f16_f32_e32 v9, v9
	v_div_fixup_f32 v19, v22, v21, v19
	v_cvt_f16_f32_e32 v20, v20
	v_cvt_f16_f32_e32 v19, v19
	v_pack_b32_f16 v8, v8, v9
	s_waitcnt vmcnt(0)
	v_pk_mul_f16 v9, v25, v8
	v_pack_b32_f16 v8, v20, v19
	v_pk_mul_f16 v8, v24, v8
	global_store_dwordx2 v[10:11], v[8:9], off
	s_andn2_b64 exec, exec, s[20:21]
	s_cbranch_execnz .LBB27_7
; %bb.8:
	s_or_b64 exec, exec, s[20:21]
	v_mad_u64_u32 v[0:1], s[0:1], v4, s24, v[0:1]
	v_mov_b32_e32 v6, v1
	v_mad_u64_u32 v[6:7], s[0:1], v5, s24, v[6:7]
	v_cmp_ne_u64_e32 vcc, v[2:3], v[4:5]
	v_mov_b32_e32 v1, v6
	s_orn2_b64 s[0:1], vcc, exec
.LBB27_9:
	s_or_b64 exec, exec, s[18:19]
	s_and_b64 exec, exec, s[0:1]
	s_cbranch_execz .LBB27_12
; %bb.10:
	s_lshl_b64 s[0:1], s[16:17], 1
	s_waitcnt lgkmcnt(0)
	s_add_u32 s4, s10, s0
	s_addc_u32 s10, s11, s1
	s_lshl_b64 s[0:1], s[12:13], 1
	s_add_u32 s5, s4, s0
	s_addc_u32 s11, s10, s1
	s_lshl_b64 s[0:1], s[14:15], 1
	s_add_u32 s6, s8, s0
	s_addc_u32 s0, s9, s1
	s_mov_b32 s1, 0
	v_lshlrev_b64 v[2:3], 1, v[0:1]
	s_lshl_b32 s7, s24, 1
	s_mov_b64 s[2:3], 0
	v_mov_b32_e32 v4, s10
	v_mov_b32_e32 v5, s11
	s_mov_b32 s8, 0x3fb8aa3b
	s_mov_b32 s9, 0x32a5705f
	;; [unrolled: 1-line block ×4, first 2 shown]
	v_mov_b32_e32 v6, 0x7f800000
	v_mov_b32_e32 v7, s0
	;; [unrolled: 1-line block ×4, first 2 shown]
.LBB27_11:                              ; =>This Inner Loop Header: Depth=1
	v_add_co_u32_e32 v10, vcc, s4, v2
	v_addc_co_u32_e32 v11, vcc, v4, v3, vcc
	v_add_co_u32_e32 v12, vcc, s5, v2
	v_addc_co_u32_e32 v13, vcc, v5, v3, vcc
	global_load_ushort v14, v[12:13], off
	global_load_ushort v15, v[10:11], off
	v_add_co_u32_e32 v10, vcc, s6, v2
	v_addc_co_u32_e32 v11, vcc, v7, v3, vcc
	v_add_co_u32_e32 v0, vcc, s24, v0
	v_addc_co_u32_e32 v1, vcc, v1, v8, vcc
	v_add_co_u32_e64 v2, s[0:1], s7, v2
	s_waitcnt vmcnt(1)
	v_cvt_f32_f16_e64 v12, -v14
	v_cvt_f32_f16_e32 v13, v14
	v_mul_f32_e32 v16, 0x3fb8aa3b, v12
	v_fma_mix_f32 v17, -v14, s8, -v16 op_sel_hi:[1,0,0]
	v_rndne_f32_e32 v18, v16
	v_fma_mix_f32 v14, -v14, s9, v17 op_sel_hi:[1,0,0]
	v_sub_f32_e32 v16, v16, v18
	v_add_f32_e32 v14, v16, v14
	v_cvt_i32_f32_e32 v17, v18
	v_exp_f32_e32 v14, v14
	v_cmp_ngt_f32_e32 vcc, s10, v12
	v_ldexp_f32 v14, v14, v17
	v_cndmask_b32_e32 v14, 0, v14, vcc
	v_cmp_nlt_f32_e32 vcc, s11, v12
	v_cndmask_b32_e32 v12, v6, v14, vcc
	v_add_f32_e32 v12, 1.0, v12
	v_div_scale_f32 v14, s[14:15], v12, v12, v13
	v_rcp_f32_e32 v16, v14
	v_div_scale_f32 v17, vcc, v13, v12, v13
	v_fma_f32 v18, -v14, v16, 1.0
	v_fmac_f32_e32 v16, v18, v16
	v_mul_f32_e32 v18, v17, v16
	v_fma_f32 v19, -v14, v18, v17
	v_fmac_f32_e32 v18, v19, v16
	v_fma_f32 v14, -v14, v18, v17
	v_div_fmas_f32 v14, v14, v16, v18
	v_div_fixup_f32 v12, v14, v12, v13
	v_cvt_f16_f32_e32 v12, v12
	v_addc_co_u32_e64 v3, vcc, v3, v9, s[0:1]
	v_cmp_le_i64_e32 vcc, s[12:13], v[0:1]
	s_or_b64 s[2:3], vcc, s[2:3]
	s_waitcnt vmcnt(0)
	v_mul_f16_e32 v12, v15, v12
	global_store_short v[10:11], v12, off
	s_andn2_b64 exec, exec, s[2:3]
	s_cbranch_execnz .LBB27_11
.LBB27_12:
	s_endpgm
	.section	.rodata,"a",@progbits
	.p2align	6, 0x0
	.amdhsa_kernel _ZN4vllm18act_and_mul_kernelIN3c104HalfE7__half2TnPFT_RKS4_EXadL_ZNS_11silu_kernelIS2_EES4_S6_EETnPFT0_RKSA_EXadL_ZNS_18packed_silu_kernelIS3_EES4_S6_EELb0ELb0ELb0ELb0EEEvPS4_PS5_if
		.amdhsa_group_segment_fixed_size 0
		.amdhsa_private_segment_fixed_size 0
		.amdhsa_kernarg_size 280
		.amdhsa_user_sgpr_count 6
		.amdhsa_user_sgpr_private_segment_buffer 1
		.amdhsa_user_sgpr_dispatch_ptr 0
		.amdhsa_user_sgpr_queue_ptr 0
		.amdhsa_user_sgpr_kernarg_segment_ptr 1
		.amdhsa_user_sgpr_dispatch_id 0
		.amdhsa_user_sgpr_flat_scratch_init 0
		.amdhsa_user_sgpr_kernarg_preload_length 0
		.amdhsa_user_sgpr_kernarg_preload_offset 0
		.amdhsa_user_sgpr_private_segment_size 0
		.amdhsa_uses_dynamic_stack 0
		.amdhsa_system_sgpr_private_segment_wavefront_offset 0
		.amdhsa_system_sgpr_workgroup_id_x 1
		.amdhsa_system_sgpr_workgroup_id_y 0
		.amdhsa_system_sgpr_workgroup_id_z 0
		.amdhsa_system_sgpr_workgroup_info 0
		.amdhsa_system_vgpr_workitem_id 0
		.amdhsa_next_free_vgpr 47
		.amdhsa_next_free_sgpr 31
		.amdhsa_accum_offset 48
		.amdhsa_reserve_vcc 1
		.amdhsa_reserve_flat_scratch 0
		.amdhsa_float_round_mode_32 0
		.amdhsa_float_round_mode_16_64 0
		.amdhsa_float_denorm_mode_32 3
		.amdhsa_float_denorm_mode_16_64 3
		.amdhsa_dx10_clamp 1
		.amdhsa_ieee_mode 1
		.amdhsa_fp16_overflow 0
		.amdhsa_tg_split 0
		.amdhsa_exception_fp_ieee_invalid_op 0
		.amdhsa_exception_fp_denorm_src 0
		.amdhsa_exception_fp_ieee_div_zero 0
		.amdhsa_exception_fp_ieee_overflow 0
		.amdhsa_exception_fp_ieee_underflow 0
		.amdhsa_exception_fp_ieee_inexact 0
		.amdhsa_exception_int_div_zero 0
	.end_amdhsa_kernel
	.section	.text._ZN4vllm18act_and_mul_kernelIN3c104HalfE7__half2TnPFT_RKS4_EXadL_ZNS_11silu_kernelIS2_EES4_S6_EETnPFT0_RKSA_EXadL_ZNS_18packed_silu_kernelIS3_EES4_S6_EELb0ELb0ELb0ELb0EEEvPS4_PS5_if,"axG",@progbits,_ZN4vllm18act_and_mul_kernelIN3c104HalfE7__half2TnPFT_RKS4_EXadL_ZNS_11silu_kernelIS2_EES4_S6_EETnPFT0_RKSA_EXadL_ZNS_18packed_silu_kernelIS3_EES4_S6_EELb0ELb0ELb0ELb0EEEvPS4_PS5_if,comdat
.Lfunc_end27:
	.size	_ZN4vllm18act_and_mul_kernelIN3c104HalfE7__half2TnPFT_RKS4_EXadL_ZNS_11silu_kernelIS2_EES4_S6_EETnPFT0_RKSA_EXadL_ZNS_18packed_silu_kernelIS3_EES4_S6_EELb0ELb0ELb0ELb0EEEvPS4_PS5_if, .Lfunc_end27-_ZN4vllm18act_and_mul_kernelIN3c104HalfE7__half2TnPFT_RKS4_EXadL_ZNS_11silu_kernelIS2_EES4_S6_EETnPFT0_RKSA_EXadL_ZNS_18packed_silu_kernelIS3_EES4_S6_EELb0ELb0ELb0ELb0EEEvPS4_PS5_if
                                        ; -- End function
	.section	.AMDGPU.csdata,"",@progbits
; Kernel info:
; codeLenInByte = 2284
; NumSgprs: 35
; NumVgprs: 47
; NumAgprs: 0
; TotalNumVgprs: 47
; ScratchSize: 0
; MemoryBound: 0
; FloatMode: 240
; IeeeMode: 1
; LDSByteSize: 0 bytes/workgroup (compile time only)
; SGPRBlocks: 4
; VGPRBlocks: 5
; NumSGPRsForWavesPerEU: 35
; NumVGPRsForWavesPerEU: 47
; AccumOffset: 48
; Occupancy: 8
; WaveLimiterHint : 0
; COMPUTE_PGM_RSRC2:SCRATCH_EN: 0
; COMPUTE_PGM_RSRC2:USER_SGPR: 6
; COMPUTE_PGM_RSRC2:TRAP_HANDLER: 0
; COMPUTE_PGM_RSRC2:TGID_X_EN: 1
; COMPUTE_PGM_RSRC2:TGID_Y_EN: 0
; COMPUTE_PGM_RSRC2:TGID_Z_EN: 0
; COMPUTE_PGM_RSRC2:TIDIG_COMP_CNT: 0
; COMPUTE_PGM_RSRC3_GFX90A:ACCUM_OFFSET: 11
; COMPUTE_PGM_RSRC3_GFX90A:TG_SPLIT: 0
	.section	.text._ZN4vllm18act_and_mul_kernelIN3c108BFloat16E15__hip_bfloat162TnPFT_RKS4_EXadL_ZNS_11silu_kernelIS2_EES4_S6_EETnPFT0_RKSA_EXadL_ZNS_18packed_silu_kernelIS3_EES4_S6_EELb0ELb0ELb0ELb0EEEvPS4_PS5_if,"axG",@progbits,_ZN4vllm18act_and_mul_kernelIN3c108BFloat16E15__hip_bfloat162TnPFT_RKS4_EXadL_ZNS_11silu_kernelIS2_EES4_S6_EETnPFT0_RKSA_EXadL_ZNS_18packed_silu_kernelIS3_EES4_S6_EELb0ELb0ELb0ELb0EEEvPS4_PS5_if,comdat
	.protected	_ZN4vllm18act_and_mul_kernelIN3c108BFloat16E15__hip_bfloat162TnPFT_RKS4_EXadL_ZNS_11silu_kernelIS2_EES4_S6_EETnPFT0_RKSA_EXadL_ZNS_18packed_silu_kernelIS3_EES4_S6_EELb0ELb0ELb0ELb0EEEvPS4_PS5_if ; -- Begin function _ZN4vllm18act_and_mul_kernelIN3c108BFloat16E15__hip_bfloat162TnPFT_RKS4_EXadL_ZNS_11silu_kernelIS2_EES4_S6_EETnPFT0_RKSA_EXadL_ZNS_18packed_silu_kernelIS3_EES4_S6_EELb0ELb0ELb0ELb0EEEvPS4_PS5_if
	.globl	_ZN4vllm18act_and_mul_kernelIN3c108BFloat16E15__hip_bfloat162TnPFT_RKS4_EXadL_ZNS_11silu_kernelIS2_EES4_S6_EETnPFT0_RKSA_EXadL_ZNS_18packed_silu_kernelIS3_EES4_S6_EELb0ELb0ELb0ELb0EEEvPS4_PS5_if
	.p2align	8
	.type	_ZN4vllm18act_and_mul_kernelIN3c108BFloat16E15__hip_bfloat162TnPFT_RKS4_EXadL_ZNS_11silu_kernelIS2_EES4_S6_EETnPFT0_RKSA_EXadL_ZNS_18packed_silu_kernelIS3_EES4_S6_EELb0ELb0ELb0ELb0EEEvPS4_PS5_if,@function
_ZN4vllm18act_and_mul_kernelIN3c108BFloat16E15__hip_bfloat162TnPFT_RKS4_EXadL_ZNS_11silu_kernelIS2_EES4_S6_EETnPFT0_RKSA_EXadL_ZNS_18packed_silu_kernelIS3_EES4_S6_EELb0ELb0ELb0ELb0EEEvPS4_PS5_if: ; @_ZN4vllm18act_and_mul_kernelIN3c108BFloat16E15__hip_bfloat162TnPFT_RKS4_EXadL_ZNS_11silu_kernelIS2_EES4_S6_EETnPFT0_RKSA_EXadL_ZNS_18packed_silu_kernelIS3_EES4_S6_EELb0ELb0ELb0ELb0EEEvPS4_PS5_if
; %bb.0:
	s_load_dword s12, s[4:5], 0x10
	s_waitcnt lgkmcnt(0)
	v_cmp_gt_i32_e32 vcc, s12, v0
	s_and_saveexec_b64 s[0:1], vcc
	s_cbranch_execz .LBB28_12
; %bb.1:
	s_load_dword s0, s[4:5], 0x24
	s_ashr_i32 s13, s12, 31
	v_mov_b32_e32 v2, s13
	v_mov_b32_e32 v1, 0
	s_mov_b32 s23, 0
	s_waitcnt lgkmcnt(0)
	s_and_b32 s22, s0, 0xffff
	v_add_co_u32_e32 v4, vcc, s22, v0
	v_addc_co_u32_e64 v5, s[0:1], 0, 0, vcc
	v_cmp_lt_i64_e32 vcc, s[12:13], v[4:5]
	v_cndmask_b32_e32 v6, v2, v5, vcc
	v_mov_b32_e32 v2, s12
	v_cndmask_b32_e32 v3, v2, v4, vcc
	v_cmp_gt_i64_e32 vcc, s[12:13], v[4:5]
	v_cndmask_b32_e64 v2, 0, 1, vcc
	v_add_co_u32_e32 v4, vcc, v4, v2
	v_addc_co_u32_e32 v5, vcc, 0, v5, vcc
	v_sub_co_u32_e32 v3, vcc, v3, v4
	v_subb_co_u32_e32 v5, vcc, v6, v5, vcc
	v_mov_b32_e32 v4, v1
	v_cmp_ne_u64_e32 vcc, 0, v[4:5]
                                        ; implicit-def: $vgpr6_vgpr7
	s_and_saveexec_b64 s[0:1], vcc
	s_xor_b64 s[2:3], exec, s[0:1]
	s_cbranch_execz .LBB28_3
; %bb.2:
	v_cvt_f32_u32_e32 v4, s22
	v_mov_b32_e32 v6, 0x4f800000
	s_sub_u32 s0, 0, s22
	s_subb_u32 s1, 0, 0
	v_mac_f32_e32 v4, 0, v6
	v_rcp_f32_e32 v4, v4
	v_mul_f32_e32 v4, 0x5f7ffffc, v4
	v_mul_f32_e32 v6, 0x2f800000, v4
	v_trunc_f32_e32 v6, v6
	v_madmk_f32 v4, v6, 0xcf800000, v4
	v_cvt_u32_f32_e32 v6, v6
	v_cvt_u32_f32_e32 v4, v4
	v_mul_lo_u32 v7, s0, v6
	v_mul_hi_u32 v9, s0, v4
	v_mul_lo_u32 v8, s1, v4
	v_add_u32_e32 v7, v9, v7
	v_mul_lo_u32 v10, s0, v4
	v_add_u32_e32 v7, v7, v8
	v_mul_hi_u32 v9, v4, v10
	v_mul_lo_u32 v11, v4, v7
	v_mul_hi_u32 v8, v4, v7
	v_add_co_u32_e32 v9, vcc, v9, v11
	v_addc_co_u32_e32 v8, vcc, 0, v8, vcc
	v_mul_hi_u32 v12, v6, v10
	v_mul_lo_u32 v10, v6, v10
	v_add_co_u32_e32 v9, vcc, v9, v10
	v_mul_hi_u32 v11, v6, v7
	v_addc_co_u32_e32 v8, vcc, v8, v12, vcc
	v_addc_co_u32_e32 v9, vcc, 0, v11, vcc
	v_mul_lo_u32 v7, v6, v7
	v_add_co_u32_e32 v7, vcc, v8, v7
	v_addc_co_u32_e32 v8, vcc, 0, v9, vcc
	v_add_co_u32_e32 v4, vcc, v4, v7
	v_addc_co_u32_e32 v6, vcc, v6, v8, vcc
	v_mul_lo_u32 v7, s0, v6
	v_mul_hi_u32 v8, s0, v4
	v_add_u32_e32 v7, v8, v7
	v_mul_lo_u32 v8, s1, v4
	v_add_u32_e32 v7, v7, v8
	v_mul_lo_u32 v9, s0, v4
	v_mul_hi_u32 v10, v6, v9
	v_mul_lo_u32 v11, v6, v9
	v_mul_lo_u32 v13, v4, v7
	v_mul_hi_u32 v9, v4, v9
	v_mul_hi_u32 v12, v4, v7
	v_add_co_u32_e32 v9, vcc, v9, v13
	v_addc_co_u32_e32 v12, vcc, 0, v12, vcc
	v_add_co_u32_e32 v9, vcc, v9, v11
	v_mul_hi_u32 v8, v6, v7
	v_addc_co_u32_e32 v9, vcc, v12, v10, vcc
	v_addc_co_u32_e32 v8, vcc, 0, v8, vcc
	v_mul_lo_u32 v7, v6, v7
	v_add_co_u32_e32 v7, vcc, v9, v7
	v_addc_co_u32_e32 v8, vcc, 0, v8, vcc
	v_add_co_u32_e32 v4, vcc, v4, v7
	v_addc_co_u32_e32 v8, vcc, v6, v8, vcc
	v_mad_u64_u32 v[6:7], s[0:1], v3, v8, 0
	v_mul_hi_u32 v9, v3, v4
	v_add_co_u32_e32 v10, vcc, v9, v6
	v_addc_co_u32_e32 v11, vcc, 0, v7, vcc
	v_mad_u64_u32 v[6:7], s[0:1], v5, v8, 0
	v_mad_u64_u32 v[8:9], s[0:1], v5, v4, 0
	v_add_co_u32_e32 v4, vcc, v10, v8
	v_addc_co_u32_e32 v4, vcc, v11, v9, vcc
	v_addc_co_u32_e32 v7, vcc, 0, v7, vcc
	v_add_co_u32_e32 v10, vcc, v4, v6
	v_addc_co_u32_e32 v11, vcc, 0, v7, vcc
	v_mad_u64_u32 v[6:7], s[0:1], s22, v10, 0
	v_mov_b32_e32 v4, v7
	v_mad_u64_u32 v[8:9], s[0:1], s22, v11, v[4:5]
	v_sub_co_u32_e32 v3, vcc, v3, v6
	v_subb_co_u32_e32 v4, vcc, v5, v8, vcc
	v_subrev_co_u32_e32 v5, vcc, s22, v3
	v_subbrev_co_u32_e32 v6, vcc, 0, v4, vcc
	v_cmp_le_u32_e32 vcc, s22, v5
	v_cndmask_b32_e64 v5, 0, -1, vcc
	v_cmp_eq_u32_e32 vcc, 0, v6
	v_cndmask_b32_e32 v5, -1, v5, vcc
	v_add_co_u32_e32 v6, vcc, 2, v10
	v_addc_co_u32_e32 v7, vcc, 0, v11, vcc
	v_add_co_u32_e32 v8, vcc, 1, v10
	v_cmp_le_u32_e64 s[0:1], s22, v3
	v_addc_co_u32_e32 v9, vcc, 0, v11, vcc
	v_cndmask_b32_e64 v3, 0, -1, s[0:1]
	v_cmp_eq_u32_e64 s[0:1], 0, v4
	v_cmp_ne_u32_e32 vcc, 0, v5
	v_cndmask_b32_e64 v3, -1, v3, s[0:1]
	v_cndmask_b32_e32 v5, v9, v7, vcc
	v_cmp_ne_u32_e64 s[0:1], 0, v3
	v_cndmask_b32_e32 v3, v8, v6, vcc
	v_cndmask_b32_e64 v7, v11, v5, s[0:1]
	v_cndmask_b32_e64 v6, v10, v3, s[0:1]
                                        ; implicit-def: $vgpr3
.LBB28_3:
	s_or_saveexec_b64 s[0:1], s[2:3]
	s_load_dwordx4 s[8:11], s[4:5], 0x0
	s_xor_b64 exec, exec, s[0:1]
	s_cbranch_execz .LBB28_5
; %bb.4:
	v_cvt_f32_u32_e32 v4, s22
	s_sub_i32 s2, 0, s22
	v_mov_b32_e32 v7, 0
	v_rcp_iflag_f32_e32 v4, v4
	v_mul_f32_e32 v4, 0x4f7ffffe, v4
	v_cvt_u32_f32_e32 v4, v4
	v_mul_lo_u32 v5, s2, v4
	v_mul_hi_u32 v5, v4, v5
	v_add_u32_e32 v4, v4, v5
	v_mul_hi_u32 v4, v3, v4
	v_mul_lo_u32 v5, v4, s22
	v_sub_u32_e32 v3, v3, v5
	v_add_u32_e32 v6, 1, v4
	v_subrev_u32_e32 v5, s22, v3
	v_cmp_le_u32_e32 vcc, s22, v3
	v_cndmask_b32_e32 v3, v3, v5, vcc
	v_cndmask_b32_e32 v4, v4, v6, vcc
	v_add_u32_e32 v5, 1, v4
	v_cmp_le_u32_e32 vcc, s22, v3
	v_cndmask_b32_e32 v6, v4, v5, vcc
.LBB28_5:
	s_or_b64 exec, exec, s[0:1]
	v_add_co_u32_e32 v2, vcc, v6, v2
	v_addc_co_u32_e32 v3, vcc, 0, v7, vcc
	v_add_co_u32_e32 v2, vcc, 1, v2
	v_addc_co_u32_e32 v3, vcc, 0, v3, vcc
	s_mul_i32 s6, s6, s12
	s_mov_b32 s15, 0
	v_cmp_lt_u64_e32 vcc, 3, v[2:3]
	v_cmp_eq_u16_e64 s[0:1], s22, 1
	s_lshl_b32 s14, s6, 1
	s_mov_b32 s7, s15
	s_and_b64 s[2:3], vcc, s[0:1]
	s_mov_b64 s[0:1], -1
	s_and_saveexec_b64 s[16:17], s[2:3]
	s_cbranch_execz .LBB28_9
; %bb.6:
	s_lshl_b64 s[0:1], s[14:15], 1
	s_waitcnt lgkmcnt(0)
	s_add_u32 s0, s10, s0
	v_lshlrev_b32_e32 v6, 1, v0
	s_addc_u32 s1, s11, s1
	v_mov_b32_e32 v7, s1
	v_add_co_u32_e32 v14, vcc, s0, v6
	v_addc_co_u32_e32 v15, vcc, 0, v7, vcc
	s_lshl_b64 s[0:1], s[12:13], 1
	s_lshl_b32 s24, s22, 3
	v_mov_b32_e32 v7, s1
	v_add_co_u32_e32 v16, vcc, s0, v14
	s_lshl_b64 s[0:1], s[6:7], 1
	s_add_u32 s0, s8, s0
	v_addc_co_u32_e32 v17, vcc, v15, v7, vcc
	s_addc_u32 s1, s9, s1
	v_and_b32_e32 v4, -4, v2
	v_mov_b32_e32 v5, v3
	v_mov_b32_e32 v7, s1
	v_add_co_u32_e32 v18, vcc, s0, v6
	v_addc_co_u32_e32 v19, vcc, 0, v7, vcc
	s_mov_b64 s[18:19], 0
	s_movk_i32 s25, 0x7fff
	v_mov_b32_e32 v20, 0x7fc00000
	s_mov_b32 s26, 0x3fb8aa3b
	s_mov_b32 s27, 0xc2ce8ed0
	;; [unrolled: 1-line block ×3, first 2 shown]
	v_mov_b32_e32 v21, 0x7f800000
	v_mov_b32_e32 v22, 0x7fc0
	s_mov_b32 s29, 0x5040100
	s_mov_b64 s[20:21], 0
	v_pk_mov_b32 v[6:7], v[4:5], v[4:5] op_sel:[0,1]
.LBB28_7:                               ; =>This Inner Loop Header: Depth=1
	v_add_co_u32_e64 v6, s[2:3], -4, v6
	v_mov_b32_e32 v11, s21
	v_add_co_u32_e32 v8, vcc, s20, v16
	v_addc_co_u32_e64 v7, s[2:3], -1, v7, s[2:3]
	v_add_co_u32_e64 v12, s[2:3], s20, v14
	v_addc_co_u32_e32 v9, vcc, v17, v11, vcc
	v_addc_co_u32_e64 v13, s[2:3], v15, v11, s[2:3]
	global_load_dwordx2 v[24:25], v[8:9], off
	global_load_dwordx2 v[26:27], v[12:13], off
	v_add_co_u32_e64 v10, s[0:1], s20, v18
	s_add_u32 s20, s20, s24
	v_addc_co_u32_e64 v11, vcc, v19, v11, s[0:1]
	s_addc_u32 s21, s21, 0
	v_cmp_eq_u64_e32 vcc, 0, v[6:7]
	s_or_b64 s[18:19], vcc, s[18:19]
	s_waitcnt vmcnt(1)
	v_and_b32_e32 v23, 0xffff0000, v25
	v_lshlrev_b32_e32 v28, 16, v25
	v_and_b32_e32 v29, 0xffff0000, v24
	v_lshlrev_b32_e32 v30, 16, v24
	s_waitcnt vmcnt(0)
	v_and_b32_e32 v13, 0xffff0000, v27
	v_lshlrev_b32_e32 v12, 16, v27
	v_and_b32_e32 v9, 0xffff0000, v26
	v_lshlrev_b32_e32 v8, 16, v26
	v_xor_b32_e32 v26, 0x80000000, v28
	v_xor_b32_e32 v27, 0x80000000, v23
	;; [unrolled: 1-line block ×4, first 2 shown]
	v_bfe_u32 v31, v27, 16, 1
	v_bfe_u32 v32, v26, 16, 1
	;; [unrolled: 1-line block ×4, first 2 shown]
	v_add3_u32 v26, v26, v32, s25
	v_add3_u32 v27, v27, v31, s25
	;; [unrolled: 1-line block ×4, first 2 shown]
	v_and_b32_e32 v27, 0xffff0000, v27
	v_and_b32_e32 v26, 0xffff0000, v26
	v_cmp_o_f32_e64 s[0:1], v28, v28
	v_cmp_o_f32_e64 s[2:3], v23, v23
	v_and_b32_e32 v25, 0xffff0000, v25
	v_and_b32_e32 v24, 0xffff0000, v24
	v_cmp_o_f32_e32 vcc, v29, v29
	v_cmp_o_f32_e64 s[4:5], v30, v30
	v_cndmask_b32_e64 v26, v20, v26, s[0:1]
	v_cndmask_b32_e64 v27, v20, v27, s[2:3]
	;; [unrolled: 1-line block ×3, first 2 shown]
	v_cndmask_b32_e32 v25, v20, v25, vcc
	v_mul_f32_e32 v31, 0x3fb8aa3b, v27
	v_mul_f32_e32 v32, 0x3fb8aa3b, v26
	v_mul_f32_e32 v33, 0x3fb8aa3b, v25
	v_mul_f32_e32 v34, 0x3fb8aa3b, v24
	v_fma_f32 v35, v27, s26, -v31
	v_rndne_f32_e32 v36, v31
	v_fma_f32 v37, v26, s26, -v32
	v_rndne_f32_e32 v38, v32
	;; [unrolled: 2-line block ×4, first 2 shown]
	v_fmac_f32_e32 v35, 0x32a5705f, v27
	v_sub_f32_e32 v31, v31, v36
	v_fmac_f32_e32 v37, 0x32a5705f, v26
	v_sub_f32_e32 v32, v32, v38
	;; [unrolled: 2-line block ×4, first 2 shown]
	v_add_f32_e32 v31, v31, v35
	v_add_f32_e32 v32, v32, v37
	v_cvt_i32_f32_e32 v36, v36
	v_cvt_i32_f32_e32 v38, v38
	v_add_f32_e32 v33, v33, v39
	v_add_f32_e32 v34, v34, v41
	v_exp_f32_e32 v31, v31
	v_exp_f32_e32 v32, v32
	v_cvt_i32_f32_e32 v40, v40
	v_cvt_i32_f32_e32 v42, v42
	v_exp_f32_e32 v33, v33
	v_exp_f32_e32 v34, v34
	v_ldexp_f32 v31, v31, v36
	v_ldexp_f32 v32, v32, v38
	v_cmp_ngt_f32_e32 vcc, s27, v26
	v_cmp_ngt_f32_e64 s[4:5], s27, v27
	v_ldexp_f32 v33, v33, v40
	v_cmp_ngt_f32_e64 s[0:1], s27, v25
	v_ldexp_f32 v34, v34, v42
	v_cmp_ngt_f32_e64 s[2:3], s27, v24
	v_cndmask_b32_e64 v31, 0, v31, s[4:5]
	v_cndmask_b32_e32 v32, 0, v32, vcc
	v_cmp_nlt_f32_e32 vcc, s28, v26
	v_cmp_nlt_f32_e64 s[4:5], s28, v27
	v_cndmask_b32_e64 v26, 0, v33, s[0:1]
	v_cmp_nlt_f32_e64 s[0:1], s28, v25
	v_cndmask_b32_e64 v33, 0, v34, s[2:3]
	;; [unrolled: 2-line block ×3, first 2 shown]
	v_cndmask_b32_e32 v24, v21, v32, vcc
	v_pk_add_f32 v[24:25], v[24:25], 1.0 op_sel_hi:[1,0]
	v_cndmask_b32_e64 v27, v21, v26, s[0:1]
	v_cndmask_b32_e64 v26, v21, v33, s[2:3]
	v_div_scale_f32 v31, s[0:1], v25, v25, v23
	v_pk_add_f32 v[26:27], v[26:27], 1.0 op_sel_hi:[1,0]
	v_div_scale_f32 v33, s[0:1], v24, v24, v28
	v_rcp_f32_e32 v39, v31
	v_div_scale_f32 v35, s[2:3], v27, v27, v29
	v_rcp_f32_e32 v40, v33
	;; [unrolled: 2-line block ×3, first 2 shown]
	v_rcp_f32_e32 v42, v37
	v_fma_f32 v43, -v31, v39, 1.0
	v_div_scale_f32 v32, vcc, v23, v25, v23
	v_fma_f32 v44, -v33, v40, 1.0
	v_fmac_f32_e32 v39, v43, v39
	v_div_scale_f32 v34, s[0:1], v28, v24, v28
	v_fma_f32 v45, -v35, v41, 1.0
	v_fmac_f32_e32 v40, v44, v40
	v_mul_f32_e32 v43, v32, v39
	v_div_scale_f32 v36, s[2:3], v29, v27, v29
	v_fma_f32 v46, -v37, v42, 1.0
	v_fmac_f32_e32 v41, v45, v41
	v_mul_f32_e32 v44, v34, v40
	v_fma_f32 v47, -v31, v43, v32
	v_div_scale_f32 v38, s[4:5], v30, v26, v30
	v_fmac_f32_e32 v42, v46, v42
	v_mul_f32_e32 v45, v36, v41
	v_fma_f32 v48, -v33, v44, v34
	v_fmac_f32_e32 v43, v47, v39
	v_mul_f32_e32 v46, v38, v42
	v_fma_f32 v49, -v35, v45, v36
	v_fmac_f32_e32 v44, v48, v40
	v_fma_f32 v31, -v31, v43, v32
	v_fma_f32 v50, -v37, v46, v38
	v_fmac_f32_e32 v45, v49, v41
	v_fma_f32 v32, -v33, v44, v34
	v_div_fmas_f32 v31, v31, v39, v43
	s_mov_b64 vcc, s[0:1]
	v_fmac_f32_e32 v46, v50, v42
	v_fma_f32 v33, -v35, v45, v36
	v_div_fixup_f32 v23, v31, v25, v23
	v_div_fmas_f32 v25, v32, v40, v44
	s_mov_b64 vcc, s[2:3]
	v_fma_f32 v34, -v37, v46, v38
	v_div_fixup_f32 v24, v25, v24, v28
	v_div_fmas_f32 v25, v33, v41, v45
	v_bfe_u32 v28, v23, 16, 1
	s_mov_b64 vcc, s[4:5]
	v_div_fixup_f32 v27, v25, v27, v29
	v_div_fmas_f32 v25, v34, v42, v46
	v_bfe_u32 v29, v24, 16, 1
	v_add3_u32 v28, v23, v28, s25
	v_div_fixup_f32 v26, v25, v26, v30
	v_bfe_u32 v25, v27, 16, 1
	v_add3_u32 v29, v24, v29, s25
	v_and_b32_e32 v28, 0xffff0000, v28
	v_cmp_o_f32_e32 vcc, v23, v23
	v_bfe_u32 v23, v26, 16, 1
	v_add3_u32 v30, v27, v25, s25
	v_and_b32_e32 v29, 0xffff0000, v29
	v_cndmask_b32_e32 v25, v20, v28, vcc
	v_cmp_o_f32_e32 vcc, v24, v24
	v_add3_u32 v23, v26, v23, s25
	v_and_b32_e32 v28, 0xffff0000, v30
	v_cndmask_b32_e32 v24, v20, v29, vcc
	v_cmp_o_f32_e32 vcc, v27, v27
	v_and_b32_e32 v23, 0xffff0000, v23
	v_cndmask_b32_e32 v27, v20, v28, vcc
	v_cmp_o_f32_e32 vcc, v26, v26
	v_pk_mul_f32 v[12:13], v[24:25], v[12:13]
	v_cndmask_b32_e32 v26, v20, v23, vcc
	v_bfe_u32 v23, v12, 16, 1
	v_bfe_u32 v24, v13, 16, 1
	v_pk_mul_f32 v[8:9], v[26:27], v[8:9]
	v_add3_u32 v24, v13, v24, s25
	v_add3_u32 v23, v12, v23, s25
	v_bfe_u32 v25, v8, 16, 1
	v_bfe_u32 v26, v9, 16, 1
	v_lshrrev_b32_e32 v23, 16, v23
	v_lshrrev_b32_e32 v24, 16, v24
	v_cmp_o_f32_e32 vcc, v13, v13
	v_cmp_o_f32_e64 s[0:1], v12, v12
	v_add3_u32 v12, v9, v26, s25
	v_add3_u32 v13, v8, v25, s25
	v_cndmask_b32_e64 v23, v22, v23, s[0:1]
	v_cndmask_b32_e32 v24, v22, v24, vcc
	v_lshrrev_b32_e32 v13, 16, v13
	v_lshrrev_b32_e32 v12, 16, v12
	v_cmp_o_f32_e32 vcc, v9, v9
	v_cmp_o_f32_e64 s[0:1], v8, v8
	v_cndmask_b32_e64 v8, v22, v13, s[0:1]
	v_cndmask_b32_e32 v12, v22, v12, vcc
	v_perm_b32 v9, v24, v23, s29
	v_perm_b32 v8, v12, v8, s29
	global_store_dwordx2 v[10:11], v[8:9], off
	s_andn2_b64 exec, exec, s[18:19]
	s_cbranch_execnz .LBB28_7
; %bb.8:
	s_or_b64 exec, exec, s[18:19]
	v_mad_u64_u32 v[0:1], s[0:1], v4, s22, v[0:1]
	v_mov_b32_e32 v6, v1
	v_mad_u64_u32 v[6:7], s[0:1], v5, s22, v[6:7]
	v_cmp_ne_u64_e32 vcc, v[2:3], v[4:5]
	v_mov_b32_e32 v1, v6
	s_orn2_b64 s[0:1], vcc, exec
.LBB28_9:
	s_or_b64 exec, exec, s[16:17]
	s_and_b64 exec, exec, s[0:1]
	s_cbranch_execz .LBB28_12
; %bb.10:
	s_lshl_b64 s[0:1], s[14:15], 1
	s_waitcnt lgkmcnt(0)
	s_add_u32 s2, s10, s0
	s_addc_u32 s10, s11, s1
	s_lshl_b64 s[0:1], s[12:13], 1
	s_add_u32 s3, s2, s0
	s_addc_u32 s11, s10, s1
	s_lshl_b64 s[0:1], s[6:7], 1
	s_add_u32 s4, s8, s0
	s_addc_u32 s14, s9, s1
	s_mov_b32 s15, 0
	v_lshlrev_b64 v[2:3], 1, v[0:1]
	s_lshl_b32 s5, s22, 1
	s_mov_b64 s[0:1], 0
	v_mov_b32_e32 v4, s10
	v_mov_b32_e32 v5, s11
	s_movk_i32 s6, 0x7fff
	v_mov_b32_e32 v6, 0x7fc00000
	s_mov_b32 s7, 0x3fb8aa3b
	s_mov_b32 s8, 0xc2ce8ed0
	;; [unrolled: 1-line block ×3, first 2 shown]
	v_mov_b32_e32 v7, 0x7f800000
	v_mov_b32_e32 v8, 0x7fc0
	;; [unrolled: 1-line block ×5, first 2 shown]
.LBB28_11:                              ; =>This Inner Loop Header: Depth=1
	v_add_co_u32_e32 v12, vcc, s2, v2
	v_addc_co_u32_e32 v13, vcc, v4, v3, vcc
	v_add_co_u32_e32 v14, vcc, s3, v2
	v_addc_co_u32_e32 v15, vcc, v5, v3, vcc
	global_load_ushort v16, v[14:15], off
	global_load_ushort v17, v[12:13], off
	v_add_co_u32_e32 v12, vcc, s4, v2
	v_addc_co_u32_e32 v13, vcc, v9, v3, vcc
	v_add_co_u32_e32 v0, vcc, s22, v0
	v_addc_co_u32_e32 v1, vcc, v1, v10, vcc
	;; [unrolled: 2-line block ×3, first 2 shown]
	v_cmp_le_i64_e32 vcc, s[12:13], v[0:1]
	s_or_b64 s[0:1], vcc, s[0:1]
	s_waitcnt vmcnt(1)
	v_lshlrev_b32_e32 v14, 16, v16
	v_xor_b32_e32 v16, 0x80000000, v14
	s_waitcnt vmcnt(0)
	v_lshlrev_b32_e32 v15, 16, v17
	v_bfe_u32 v17, v16, 16, 1
	v_add3_u32 v16, v16, v17, s6
	v_and_b32_e32 v16, 0xffff0000, v16
	v_cmp_o_f32_e32 vcc, v14, v14
	v_cndmask_b32_e32 v16, v6, v16, vcc
	v_mul_f32_e32 v17, 0x3fb8aa3b, v16
	v_fma_f32 v18, v16, s7, -v17
	v_rndne_f32_e32 v19, v17
	v_fmac_f32_e32 v18, 0x32a5705f, v16
	v_sub_f32_e32 v17, v17, v19
	v_add_f32_e32 v17, v17, v18
	v_cvt_i32_f32_e32 v19, v19
	v_exp_f32_e32 v17, v17
	v_cmp_ngt_f32_e32 vcc, s8, v16
	v_ldexp_f32 v17, v17, v19
	v_cndmask_b32_e32 v17, 0, v17, vcc
	v_cmp_nlt_f32_e32 vcc, s9, v16
	v_cndmask_b32_e32 v16, v7, v17, vcc
	v_add_f32_e32 v16, 1.0, v16
	v_div_scale_f32 v17, s[10:11], v16, v16, v14
	v_rcp_f32_e32 v19, v17
	v_div_scale_f32 v18, vcc, v14, v16, v14
	v_fma_f32 v20, -v17, v19, 1.0
	v_fmac_f32_e32 v19, v20, v19
	v_mul_f32_e32 v20, v18, v19
	v_fma_f32 v21, -v17, v20, v18
	v_fmac_f32_e32 v20, v21, v19
	v_fma_f32 v17, -v17, v20, v18
	v_div_fmas_f32 v17, v17, v19, v20
	v_div_fixup_f32 v14, v17, v16, v14
	v_bfe_u32 v16, v14, 16, 1
	v_add3_u32 v16, v14, v16, s6
	v_and_b32_e32 v16, 0xffff0000, v16
	v_cmp_o_f32_e32 vcc, v14, v14
	v_cndmask_b32_e32 v14, v6, v16, vcc
	v_mul_f32_e32 v14, v14, v15
	v_bfe_u32 v15, v14, 16, 1
	v_add3_u32 v15, v14, v15, s6
	v_lshrrev_b32_e32 v15, 16, v15
	v_cmp_o_f32_e32 vcc, v14, v14
	v_cndmask_b32_e32 v14, v8, v15, vcc
	global_store_short v[12:13], v14, off
	s_andn2_b64 exec, exec, s[0:1]
	s_cbranch_execnz .LBB28_11
.LBB28_12:
	s_endpgm
	.section	.rodata,"a",@progbits
	.p2align	6, 0x0
	.amdhsa_kernel _ZN4vllm18act_and_mul_kernelIN3c108BFloat16E15__hip_bfloat162TnPFT_RKS4_EXadL_ZNS_11silu_kernelIS2_EES4_S6_EETnPFT0_RKSA_EXadL_ZNS_18packed_silu_kernelIS3_EES4_S6_EELb0ELb0ELb0ELb0EEEvPS4_PS5_if
		.amdhsa_group_segment_fixed_size 0
		.amdhsa_private_segment_fixed_size 0
		.amdhsa_kernarg_size 280
		.amdhsa_user_sgpr_count 6
		.amdhsa_user_sgpr_private_segment_buffer 1
		.amdhsa_user_sgpr_dispatch_ptr 0
		.amdhsa_user_sgpr_queue_ptr 0
		.amdhsa_user_sgpr_kernarg_segment_ptr 1
		.amdhsa_user_sgpr_dispatch_id 0
		.amdhsa_user_sgpr_flat_scratch_init 0
		.amdhsa_user_sgpr_kernarg_preload_length 0
		.amdhsa_user_sgpr_kernarg_preload_offset 0
		.amdhsa_user_sgpr_private_segment_size 0
		.amdhsa_uses_dynamic_stack 0
		.amdhsa_system_sgpr_private_segment_wavefront_offset 0
		.amdhsa_system_sgpr_workgroup_id_x 1
		.amdhsa_system_sgpr_workgroup_id_y 0
		.amdhsa_system_sgpr_workgroup_id_z 0
		.amdhsa_system_sgpr_workgroup_info 0
		.amdhsa_system_vgpr_workitem_id 0
		.amdhsa_next_free_vgpr 51
		.amdhsa_next_free_sgpr 30
		.amdhsa_accum_offset 52
		.amdhsa_reserve_vcc 1
		.amdhsa_reserve_flat_scratch 0
		.amdhsa_float_round_mode_32 0
		.amdhsa_float_round_mode_16_64 0
		.amdhsa_float_denorm_mode_32 3
		.amdhsa_float_denorm_mode_16_64 3
		.amdhsa_dx10_clamp 1
		.amdhsa_ieee_mode 1
		.amdhsa_fp16_overflow 0
		.amdhsa_tg_split 0
		.amdhsa_exception_fp_ieee_invalid_op 0
		.amdhsa_exception_fp_denorm_src 0
		.amdhsa_exception_fp_ieee_div_zero 0
		.amdhsa_exception_fp_ieee_overflow 0
		.amdhsa_exception_fp_ieee_underflow 0
		.amdhsa_exception_fp_ieee_inexact 0
		.amdhsa_exception_int_div_zero 0
	.end_amdhsa_kernel
	.section	.text._ZN4vllm18act_and_mul_kernelIN3c108BFloat16E15__hip_bfloat162TnPFT_RKS4_EXadL_ZNS_11silu_kernelIS2_EES4_S6_EETnPFT0_RKSA_EXadL_ZNS_18packed_silu_kernelIS3_EES4_S6_EELb0ELb0ELb0ELb0EEEvPS4_PS5_if,"axG",@progbits,_ZN4vllm18act_and_mul_kernelIN3c108BFloat16E15__hip_bfloat162TnPFT_RKS4_EXadL_ZNS_11silu_kernelIS2_EES4_S6_EETnPFT0_RKSA_EXadL_ZNS_18packed_silu_kernelIS3_EES4_S6_EELb0ELb0ELb0ELb0EEEvPS4_PS5_if,comdat
.Lfunc_end28:
	.size	_ZN4vllm18act_and_mul_kernelIN3c108BFloat16E15__hip_bfloat162TnPFT_RKS4_EXadL_ZNS_11silu_kernelIS2_EES4_S6_EETnPFT0_RKSA_EXadL_ZNS_18packed_silu_kernelIS3_EES4_S6_EELb0ELb0ELb0ELb0EEEvPS4_PS5_if, .Lfunc_end28-_ZN4vllm18act_and_mul_kernelIN3c108BFloat16E15__hip_bfloat162TnPFT_RKS4_EXadL_ZNS_11silu_kernelIS2_EES4_S6_EETnPFT0_RKSA_EXadL_ZNS_18packed_silu_kernelIS3_EES4_S6_EELb0ELb0ELb0ELb0EEEvPS4_PS5_if
                                        ; -- End function
	.section	.AMDGPU.csdata,"",@progbits
; Kernel info:
; codeLenInByte = 2812
; NumSgprs: 34
; NumVgprs: 51
; NumAgprs: 0
; TotalNumVgprs: 51
; ScratchSize: 0
; MemoryBound: 0
; FloatMode: 240
; IeeeMode: 1
; LDSByteSize: 0 bytes/workgroup (compile time only)
; SGPRBlocks: 4
; VGPRBlocks: 6
; NumSGPRsForWavesPerEU: 34
; NumVGPRsForWavesPerEU: 51
; AccumOffset: 52
; Occupancy: 8
; WaveLimiterHint : 0
; COMPUTE_PGM_RSRC2:SCRATCH_EN: 0
; COMPUTE_PGM_RSRC2:USER_SGPR: 6
; COMPUTE_PGM_RSRC2:TRAP_HANDLER: 0
; COMPUTE_PGM_RSRC2:TGID_X_EN: 1
; COMPUTE_PGM_RSRC2:TGID_Y_EN: 0
; COMPUTE_PGM_RSRC2:TGID_Z_EN: 0
; COMPUTE_PGM_RSRC2:TIDIG_COMP_CNT: 0
; COMPUTE_PGM_RSRC3_GFX90A:ACCUM_OFFSET: 12
; COMPUTE_PGM_RSRC3_GFX90A:TG_SPLIT: 0
	.section	.text._ZN4vllm18act_and_mul_kernelIf15HIP_vector_typeIfLj2EETnPFT_RKS3_EXadL_ZNS_11gelu_kernelIfEES3_S5_EETnPFT0_RKS9_EXadL_ZNS_18packed_gelu_kernelIS2_EES3_S5_EELb1ELb1ELb0ELb1EEEvPS3_PS4_if,"axG",@progbits,_ZN4vllm18act_and_mul_kernelIf15HIP_vector_typeIfLj2EETnPFT_RKS3_EXadL_ZNS_11gelu_kernelIfEES3_S5_EETnPFT0_RKS9_EXadL_ZNS_18packed_gelu_kernelIS2_EES3_S5_EELb1ELb1ELb0ELb1EEEvPS3_PS4_if,comdat
	.protected	_ZN4vllm18act_and_mul_kernelIf15HIP_vector_typeIfLj2EETnPFT_RKS3_EXadL_ZNS_11gelu_kernelIfEES3_S5_EETnPFT0_RKS9_EXadL_ZNS_18packed_gelu_kernelIS2_EES3_S5_EELb1ELb1ELb0ELb1EEEvPS3_PS4_if ; -- Begin function _ZN4vllm18act_and_mul_kernelIf15HIP_vector_typeIfLj2EETnPFT_RKS3_EXadL_ZNS_11gelu_kernelIfEES3_S5_EETnPFT0_RKS9_EXadL_ZNS_18packed_gelu_kernelIS2_EES3_S5_EELb1ELb1ELb0ELb1EEEvPS3_PS4_if
	.globl	_ZN4vllm18act_and_mul_kernelIf15HIP_vector_typeIfLj2EETnPFT_RKS3_EXadL_ZNS_11gelu_kernelIfEES3_S5_EETnPFT0_RKS9_EXadL_ZNS_18packed_gelu_kernelIS2_EES3_S5_EELb1ELb1ELb0ELb1EEEvPS3_PS4_if
	.p2align	8
	.type	_ZN4vllm18act_and_mul_kernelIf15HIP_vector_typeIfLj2EETnPFT_RKS3_EXadL_ZNS_11gelu_kernelIfEES3_S5_EETnPFT0_RKS9_EXadL_ZNS_18packed_gelu_kernelIS2_EES3_S5_EELb1ELb1ELb0ELb1EEEvPS3_PS4_if,@function
_ZN4vllm18act_and_mul_kernelIf15HIP_vector_typeIfLj2EETnPFT_RKS3_EXadL_ZNS_11gelu_kernelIfEES3_S5_EETnPFT0_RKS9_EXadL_ZNS_18packed_gelu_kernelIS2_EES3_S5_EELb1ELb1ELb0ELb1EEEvPS3_PS4_if: ; @_ZN4vllm18act_and_mul_kernelIf15HIP_vector_typeIfLj2EETnPFT_RKS3_EXadL_ZNS_11gelu_kernelIfEES3_S5_EETnPFT0_RKS9_EXadL_ZNS_18packed_gelu_kernelIS2_EES3_S5_EELb1ELb1ELb0ELb1EEEvPS3_PS4_if
; %bb.0:
	s_add_u32 flat_scratch_lo, s6, s9
	s_load_dword s6, s[4:5], 0x10
	s_addc_u32 flat_scratch_hi, s7, 0
	s_add_u32 s0, s0, s9
	s_addc_u32 s1, s1, 0
	s_mov_b32 s32, 0
	s_waitcnt lgkmcnt(0)
	s_ashr_i32 s7, s6, 31
	s_lshr_b32 s7, s7, 29
	s_add_i32 s6, s6, s7
	s_ashr_i32 s6, s6, 3
	v_cmp_gt_i32_e32 vcc, s6, v0
	s_and_saveexec_b64 s[6:7], vcc
	s_cbranch_execz .LBB29_2
; %bb.1:
	s_add_u32 s8, s4, 24
	s_addc_u32 s9, s5, 0
	s_getpc_b64 s[4:5]
	s_add_u32 s4, s4, .str@rel32@lo+4
	s_addc_u32 s5, s5, .str@rel32@hi+12
	s_getpc_b64 s[6:7]
	s_add_u32 s6, s6, __PRETTY_FUNCTION__._ZN4vllm5ld256ERNS_7u32x8_tEPKS0_@rel32@lo+4
	s_addc_u32 s7, s7, __PRETTY_FUNCTION__._ZN4vllm5ld256ERNS_7u32x8_tEPKS0_@rel32@hi+12
	v_mov_b32_e32 v0, s4
	v_mov_b32_e32 v1, s5
	;; [unrolled: 1-line block ×5, first 2 shown]
	s_getpc_b64 s[10:11]
	s_add_u32 s10, s10, __assert_fail@rel32@lo+4
	s_addc_u32 s11, s11, __assert_fail@rel32@hi+12
	s_swappc_b64 s[30:31], s[10:11]
	; divergent unreachable
.LBB29_2:
	s_endpgm
	.section	.rodata,"a",@progbits
	.p2align	6, 0x0
	.amdhsa_kernel _ZN4vllm18act_and_mul_kernelIf15HIP_vector_typeIfLj2EETnPFT_RKS3_EXadL_ZNS_11gelu_kernelIfEES3_S5_EETnPFT0_RKS9_EXadL_ZNS_18packed_gelu_kernelIS2_EES3_S5_EELb1ELb1ELb0ELb1EEEvPS3_PS4_if
		.amdhsa_group_segment_fixed_size 0
		.amdhsa_private_segment_fixed_size 64
		.amdhsa_kernarg_size 280
		.amdhsa_user_sgpr_count 8
		.amdhsa_user_sgpr_private_segment_buffer 1
		.amdhsa_user_sgpr_dispatch_ptr 0
		.amdhsa_user_sgpr_queue_ptr 0
		.amdhsa_user_sgpr_kernarg_segment_ptr 1
		.amdhsa_user_sgpr_dispatch_id 0
		.amdhsa_user_sgpr_flat_scratch_init 1
		.amdhsa_user_sgpr_kernarg_preload_length 0
		.amdhsa_user_sgpr_kernarg_preload_offset 0
		.amdhsa_user_sgpr_private_segment_size 0
		.amdhsa_uses_dynamic_stack 0
		.amdhsa_system_sgpr_private_segment_wavefront_offset 1
		.amdhsa_system_sgpr_workgroup_id_x 1
		.amdhsa_system_sgpr_workgroup_id_y 0
		.amdhsa_system_sgpr_workgroup_id_z 0
		.amdhsa_system_sgpr_workgroup_info 0
		.amdhsa_system_vgpr_workitem_id 0
		.amdhsa_next_free_vgpr 51
		.amdhsa_next_free_sgpr 34
		.amdhsa_accum_offset 52
		.amdhsa_reserve_vcc 1
		.amdhsa_reserve_flat_scratch 1
		.amdhsa_float_round_mode_32 0
		.amdhsa_float_round_mode_16_64 0
		.amdhsa_float_denorm_mode_32 3
		.amdhsa_float_denorm_mode_16_64 3
		.amdhsa_dx10_clamp 1
		.amdhsa_ieee_mode 1
		.amdhsa_fp16_overflow 0
		.amdhsa_tg_split 0
		.amdhsa_exception_fp_ieee_invalid_op 0
		.amdhsa_exception_fp_denorm_src 0
		.amdhsa_exception_fp_ieee_div_zero 0
		.amdhsa_exception_fp_ieee_overflow 0
		.amdhsa_exception_fp_ieee_underflow 0
		.amdhsa_exception_fp_ieee_inexact 0
		.amdhsa_exception_int_div_zero 0
	.end_amdhsa_kernel
	.section	.text._ZN4vllm18act_and_mul_kernelIf15HIP_vector_typeIfLj2EETnPFT_RKS3_EXadL_ZNS_11gelu_kernelIfEES3_S5_EETnPFT0_RKS9_EXadL_ZNS_18packed_gelu_kernelIS2_EES3_S5_EELb1ELb1ELb0ELb1EEEvPS3_PS4_if,"axG",@progbits,_ZN4vllm18act_and_mul_kernelIf15HIP_vector_typeIfLj2EETnPFT_RKS3_EXadL_ZNS_11gelu_kernelIfEES3_S5_EETnPFT0_RKS9_EXadL_ZNS_18packed_gelu_kernelIS2_EES3_S5_EELb1ELb1ELb0ELb1EEEvPS3_PS4_if,comdat
.Lfunc_end29:
	.size	_ZN4vllm18act_and_mul_kernelIf15HIP_vector_typeIfLj2EETnPFT_RKS3_EXadL_ZNS_11gelu_kernelIfEES3_S5_EETnPFT0_RKS9_EXadL_ZNS_18packed_gelu_kernelIS2_EES3_S5_EELb1ELb1ELb0ELb1EEEvPS3_PS4_if, .Lfunc_end29-_ZN4vllm18act_and_mul_kernelIf15HIP_vector_typeIfLj2EETnPFT_RKS3_EXadL_ZNS_11gelu_kernelIfEES3_S5_EETnPFT0_RKS9_EXadL_ZNS_18packed_gelu_kernelIS2_EES3_S5_EELb1ELb1ELb0ELb1EEEvPS3_PS4_if
                                        ; -- End function
	.section	.AMDGPU.csdata,"",@progbits
; Kernel info:
; codeLenInByte = 160
; NumSgprs: 40
; NumVgprs: 51
; NumAgprs: 0
; TotalNumVgprs: 51
; ScratchSize: 64
; MemoryBound: 0
; FloatMode: 240
; IeeeMode: 1
; LDSByteSize: 0 bytes/workgroup (compile time only)
; SGPRBlocks: 4
; VGPRBlocks: 6
; NumSGPRsForWavesPerEU: 40
; NumVGPRsForWavesPerEU: 51
; AccumOffset: 52
; Occupancy: 8
; WaveLimiterHint : 1
; COMPUTE_PGM_RSRC2:SCRATCH_EN: 1
; COMPUTE_PGM_RSRC2:USER_SGPR: 8
; COMPUTE_PGM_RSRC2:TRAP_HANDLER: 0
; COMPUTE_PGM_RSRC2:TGID_X_EN: 1
; COMPUTE_PGM_RSRC2:TGID_Y_EN: 0
; COMPUTE_PGM_RSRC2:TGID_Z_EN: 0
; COMPUTE_PGM_RSRC2:TIDIG_COMP_CNT: 0
; COMPUTE_PGM_RSRC3_GFX90A:ACCUM_OFFSET: 12
; COMPUTE_PGM_RSRC3_GFX90A:TG_SPLIT: 0
	.section	.text._ZN4vllm18act_and_mul_kernelIN3c104HalfE7__half2TnPFT_RKS4_EXadL_ZNS_11gelu_kernelIS2_EES4_S6_EETnPFT0_RKSA_EXadL_ZNS_18packed_gelu_kernelIS3_EES4_S6_EELb1ELb1ELb0ELb1EEEvPS4_PS5_if,"axG",@progbits,_ZN4vllm18act_and_mul_kernelIN3c104HalfE7__half2TnPFT_RKS4_EXadL_ZNS_11gelu_kernelIS2_EES4_S6_EETnPFT0_RKSA_EXadL_ZNS_18packed_gelu_kernelIS3_EES4_S6_EELb1ELb1ELb0ELb1EEEvPS4_PS5_if,comdat
	.protected	_ZN4vllm18act_and_mul_kernelIN3c104HalfE7__half2TnPFT_RKS4_EXadL_ZNS_11gelu_kernelIS2_EES4_S6_EETnPFT0_RKSA_EXadL_ZNS_18packed_gelu_kernelIS3_EES4_S6_EELb1ELb1ELb0ELb1EEEvPS4_PS5_if ; -- Begin function _ZN4vllm18act_and_mul_kernelIN3c104HalfE7__half2TnPFT_RKS4_EXadL_ZNS_11gelu_kernelIS2_EES4_S6_EETnPFT0_RKSA_EXadL_ZNS_18packed_gelu_kernelIS3_EES4_S6_EELb1ELb1ELb0ELb1EEEvPS4_PS5_if
	.globl	_ZN4vllm18act_and_mul_kernelIN3c104HalfE7__half2TnPFT_RKS4_EXadL_ZNS_11gelu_kernelIS2_EES4_S6_EETnPFT0_RKSA_EXadL_ZNS_18packed_gelu_kernelIS3_EES4_S6_EELb1ELb1ELb0ELb1EEEvPS4_PS5_if
	.p2align	8
	.type	_ZN4vllm18act_and_mul_kernelIN3c104HalfE7__half2TnPFT_RKS4_EXadL_ZNS_11gelu_kernelIS2_EES4_S6_EETnPFT0_RKSA_EXadL_ZNS_18packed_gelu_kernelIS3_EES4_S6_EELb1ELb1ELb0ELb1EEEvPS4_PS5_if,@function
_ZN4vllm18act_and_mul_kernelIN3c104HalfE7__half2TnPFT_RKS4_EXadL_ZNS_11gelu_kernelIS2_EES4_S6_EETnPFT0_RKSA_EXadL_ZNS_18packed_gelu_kernelIS3_EES4_S6_EELb1ELb1ELb0ELb1EEEvPS4_PS5_if: ; @_ZN4vllm18act_and_mul_kernelIN3c104HalfE7__half2TnPFT_RKS4_EXadL_ZNS_11gelu_kernelIS2_EES4_S6_EETnPFT0_RKSA_EXadL_ZNS_18packed_gelu_kernelIS3_EES4_S6_EELb1ELb1ELb0ELb1EEEvPS4_PS5_if
; %bb.0:
	s_add_u32 flat_scratch_lo, s6, s9
	s_load_dword s6, s[4:5], 0x10
	s_addc_u32 flat_scratch_hi, s7, 0
	s_add_u32 s0, s0, s9
	s_addc_u32 s1, s1, 0
	s_mov_b32 s32, 0
	s_waitcnt lgkmcnt(0)
	s_ashr_i32 s7, s6, 31
	s_lshr_b32 s7, s7, 28
	s_add_i32 s6, s6, s7
	s_ashr_i32 s6, s6, 4
	v_cmp_gt_i32_e32 vcc, s6, v0
	s_and_saveexec_b64 s[6:7], vcc
	s_cbranch_execz .LBB30_2
; %bb.1:
	s_add_u32 s8, s4, 24
	s_addc_u32 s9, s5, 0
	s_getpc_b64 s[4:5]
	s_add_u32 s4, s4, .str@rel32@lo+4
	s_addc_u32 s5, s5, .str@rel32@hi+12
	s_getpc_b64 s[6:7]
	s_add_u32 s6, s6, __PRETTY_FUNCTION__._ZN4vllm5ld256ERNS_7u32x8_tEPKS0_@rel32@lo+4
	s_addc_u32 s7, s7, __PRETTY_FUNCTION__._ZN4vllm5ld256ERNS_7u32x8_tEPKS0_@rel32@hi+12
	v_mov_b32_e32 v0, s4
	v_mov_b32_e32 v1, s5
	;; [unrolled: 1-line block ×5, first 2 shown]
	s_getpc_b64 s[10:11]
	s_add_u32 s10, s10, __assert_fail@rel32@lo+4
	s_addc_u32 s11, s11, __assert_fail@rel32@hi+12
	s_swappc_b64 s[30:31], s[10:11]
	; divergent unreachable
.LBB30_2:
	s_endpgm
	.section	.rodata,"a",@progbits
	.p2align	6, 0x0
	.amdhsa_kernel _ZN4vllm18act_and_mul_kernelIN3c104HalfE7__half2TnPFT_RKS4_EXadL_ZNS_11gelu_kernelIS2_EES4_S6_EETnPFT0_RKSA_EXadL_ZNS_18packed_gelu_kernelIS3_EES4_S6_EELb1ELb1ELb0ELb1EEEvPS4_PS5_if
		.amdhsa_group_segment_fixed_size 0
		.amdhsa_private_segment_fixed_size 64
		.amdhsa_kernarg_size 280
		.amdhsa_user_sgpr_count 8
		.amdhsa_user_sgpr_private_segment_buffer 1
		.amdhsa_user_sgpr_dispatch_ptr 0
		.amdhsa_user_sgpr_queue_ptr 0
		.amdhsa_user_sgpr_kernarg_segment_ptr 1
		.amdhsa_user_sgpr_dispatch_id 0
		.amdhsa_user_sgpr_flat_scratch_init 1
		.amdhsa_user_sgpr_kernarg_preload_length 0
		.amdhsa_user_sgpr_kernarg_preload_offset 0
		.amdhsa_user_sgpr_private_segment_size 0
		.amdhsa_uses_dynamic_stack 0
		.amdhsa_system_sgpr_private_segment_wavefront_offset 1
		.amdhsa_system_sgpr_workgroup_id_x 1
		.amdhsa_system_sgpr_workgroup_id_y 0
		.amdhsa_system_sgpr_workgroup_id_z 0
		.amdhsa_system_sgpr_workgroup_info 0
		.amdhsa_system_vgpr_workitem_id 0
		.amdhsa_next_free_vgpr 51
		.amdhsa_next_free_sgpr 34
		.amdhsa_accum_offset 52
		.amdhsa_reserve_vcc 1
		.amdhsa_reserve_flat_scratch 1
		.amdhsa_float_round_mode_32 0
		.amdhsa_float_round_mode_16_64 0
		.amdhsa_float_denorm_mode_32 3
		.amdhsa_float_denorm_mode_16_64 3
		.amdhsa_dx10_clamp 1
		.amdhsa_ieee_mode 1
		.amdhsa_fp16_overflow 0
		.amdhsa_tg_split 0
		.amdhsa_exception_fp_ieee_invalid_op 0
		.amdhsa_exception_fp_denorm_src 0
		.amdhsa_exception_fp_ieee_div_zero 0
		.amdhsa_exception_fp_ieee_overflow 0
		.amdhsa_exception_fp_ieee_underflow 0
		.amdhsa_exception_fp_ieee_inexact 0
		.amdhsa_exception_int_div_zero 0
	.end_amdhsa_kernel
	.section	.text._ZN4vllm18act_and_mul_kernelIN3c104HalfE7__half2TnPFT_RKS4_EXadL_ZNS_11gelu_kernelIS2_EES4_S6_EETnPFT0_RKSA_EXadL_ZNS_18packed_gelu_kernelIS3_EES4_S6_EELb1ELb1ELb0ELb1EEEvPS4_PS5_if,"axG",@progbits,_ZN4vllm18act_and_mul_kernelIN3c104HalfE7__half2TnPFT_RKS4_EXadL_ZNS_11gelu_kernelIS2_EES4_S6_EETnPFT0_RKSA_EXadL_ZNS_18packed_gelu_kernelIS3_EES4_S6_EELb1ELb1ELb0ELb1EEEvPS4_PS5_if,comdat
.Lfunc_end30:
	.size	_ZN4vllm18act_and_mul_kernelIN3c104HalfE7__half2TnPFT_RKS4_EXadL_ZNS_11gelu_kernelIS2_EES4_S6_EETnPFT0_RKSA_EXadL_ZNS_18packed_gelu_kernelIS3_EES4_S6_EELb1ELb1ELb0ELb1EEEvPS4_PS5_if, .Lfunc_end30-_ZN4vllm18act_and_mul_kernelIN3c104HalfE7__half2TnPFT_RKS4_EXadL_ZNS_11gelu_kernelIS2_EES4_S6_EETnPFT0_RKSA_EXadL_ZNS_18packed_gelu_kernelIS3_EES4_S6_EELb1ELb1ELb0ELb1EEEvPS4_PS5_if
                                        ; -- End function
	.section	.AMDGPU.csdata,"",@progbits
; Kernel info:
; codeLenInByte = 160
; NumSgprs: 40
; NumVgprs: 51
; NumAgprs: 0
; TotalNumVgprs: 51
; ScratchSize: 64
; MemoryBound: 0
; FloatMode: 240
; IeeeMode: 1
; LDSByteSize: 0 bytes/workgroup (compile time only)
; SGPRBlocks: 4
; VGPRBlocks: 6
; NumSGPRsForWavesPerEU: 40
; NumVGPRsForWavesPerEU: 51
; AccumOffset: 52
; Occupancy: 8
; WaveLimiterHint : 1
; COMPUTE_PGM_RSRC2:SCRATCH_EN: 1
; COMPUTE_PGM_RSRC2:USER_SGPR: 8
; COMPUTE_PGM_RSRC2:TRAP_HANDLER: 0
; COMPUTE_PGM_RSRC2:TGID_X_EN: 1
; COMPUTE_PGM_RSRC2:TGID_Y_EN: 0
; COMPUTE_PGM_RSRC2:TGID_Z_EN: 0
; COMPUTE_PGM_RSRC2:TIDIG_COMP_CNT: 0
; COMPUTE_PGM_RSRC3_GFX90A:ACCUM_OFFSET: 12
; COMPUTE_PGM_RSRC3_GFX90A:TG_SPLIT: 0
	.section	.text._ZN4vllm18act_and_mul_kernelIN3c108BFloat16E15__hip_bfloat162TnPFT_RKS4_EXadL_ZNS_11gelu_kernelIS2_EES4_S6_EETnPFT0_RKSA_EXadL_ZNS_18packed_gelu_kernelIS3_EES4_S6_EELb1ELb1ELb0ELb1EEEvPS4_PS5_if,"axG",@progbits,_ZN4vllm18act_and_mul_kernelIN3c108BFloat16E15__hip_bfloat162TnPFT_RKS4_EXadL_ZNS_11gelu_kernelIS2_EES4_S6_EETnPFT0_RKSA_EXadL_ZNS_18packed_gelu_kernelIS3_EES4_S6_EELb1ELb1ELb0ELb1EEEvPS4_PS5_if,comdat
	.protected	_ZN4vllm18act_and_mul_kernelIN3c108BFloat16E15__hip_bfloat162TnPFT_RKS4_EXadL_ZNS_11gelu_kernelIS2_EES4_S6_EETnPFT0_RKSA_EXadL_ZNS_18packed_gelu_kernelIS3_EES4_S6_EELb1ELb1ELb0ELb1EEEvPS4_PS5_if ; -- Begin function _ZN4vllm18act_and_mul_kernelIN3c108BFloat16E15__hip_bfloat162TnPFT_RKS4_EXadL_ZNS_11gelu_kernelIS2_EES4_S6_EETnPFT0_RKSA_EXadL_ZNS_18packed_gelu_kernelIS3_EES4_S6_EELb1ELb1ELb0ELb1EEEvPS4_PS5_if
	.globl	_ZN4vllm18act_and_mul_kernelIN3c108BFloat16E15__hip_bfloat162TnPFT_RKS4_EXadL_ZNS_11gelu_kernelIS2_EES4_S6_EETnPFT0_RKSA_EXadL_ZNS_18packed_gelu_kernelIS3_EES4_S6_EELb1ELb1ELb0ELb1EEEvPS4_PS5_if
	.p2align	8
	.type	_ZN4vllm18act_and_mul_kernelIN3c108BFloat16E15__hip_bfloat162TnPFT_RKS4_EXadL_ZNS_11gelu_kernelIS2_EES4_S6_EETnPFT0_RKSA_EXadL_ZNS_18packed_gelu_kernelIS3_EES4_S6_EELb1ELb1ELb0ELb1EEEvPS4_PS5_if,@function
_ZN4vllm18act_and_mul_kernelIN3c108BFloat16E15__hip_bfloat162TnPFT_RKS4_EXadL_ZNS_11gelu_kernelIS2_EES4_S6_EETnPFT0_RKSA_EXadL_ZNS_18packed_gelu_kernelIS3_EES4_S6_EELb1ELb1ELb0ELb1EEEvPS4_PS5_if: ; @_ZN4vllm18act_and_mul_kernelIN3c108BFloat16E15__hip_bfloat162TnPFT_RKS4_EXadL_ZNS_11gelu_kernelIS2_EES4_S6_EETnPFT0_RKSA_EXadL_ZNS_18packed_gelu_kernelIS3_EES4_S6_EELb1ELb1ELb0ELb1EEEvPS4_PS5_if
; %bb.0:
	s_add_u32 flat_scratch_lo, s6, s9
	s_load_dword s6, s[4:5], 0x10
	s_addc_u32 flat_scratch_hi, s7, 0
	s_add_u32 s0, s0, s9
	s_addc_u32 s1, s1, 0
	s_mov_b32 s32, 0
	s_waitcnt lgkmcnt(0)
	s_ashr_i32 s7, s6, 31
	s_lshr_b32 s7, s7, 28
	s_add_i32 s6, s6, s7
	s_ashr_i32 s6, s6, 4
	v_cmp_gt_i32_e32 vcc, s6, v0
	s_and_saveexec_b64 s[6:7], vcc
	s_cbranch_execz .LBB31_2
; %bb.1:
	s_add_u32 s8, s4, 24
	s_addc_u32 s9, s5, 0
	s_getpc_b64 s[4:5]
	s_add_u32 s4, s4, .str@rel32@lo+4
	s_addc_u32 s5, s5, .str@rel32@hi+12
	s_getpc_b64 s[6:7]
	s_add_u32 s6, s6, __PRETTY_FUNCTION__._ZN4vllm5ld256ERNS_7u32x8_tEPKS0_@rel32@lo+4
	s_addc_u32 s7, s7, __PRETTY_FUNCTION__._ZN4vllm5ld256ERNS_7u32x8_tEPKS0_@rel32@hi+12
	v_mov_b32_e32 v0, s4
	v_mov_b32_e32 v1, s5
	;; [unrolled: 1-line block ×5, first 2 shown]
	s_getpc_b64 s[10:11]
	s_add_u32 s10, s10, __assert_fail@rel32@lo+4
	s_addc_u32 s11, s11, __assert_fail@rel32@hi+12
	s_swappc_b64 s[30:31], s[10:11]
	; divergent unreachable
.LBB31_2:
	s_endpgm
	.section	.rodata,"a",@progbits
	.p2align	6, 0x0
	.amdhsa_kernel _ZN4vllm18act_and_mul_kernelIN3c108BFloat16E15__hip_bfloat162TnPFT_RKS4_EXadL_ZNS_11gelu_kernelIS2_EES4_S6_EETnPFT0_RKSA_EXadL_ZNS_18packed_gelu_kernelIS3_EES4_S6_EELb1ELb1ELb0ELb1EEEvPS4_PS5_if
		.amdhsa_group_segment_fixed_size 0
		.amdhsa_private_segment_fixed_size 64
		.amdhsa_kernarg_size 280
		.amdhsa_user_sgpr_count 8
		.amdhsa_user_sgpr_private_segment_buffer 1
		.amdhsa_user_sgpr_dispatch_ptr 0
		.amdhsa_user_sgpr_queue_ptr 0
		.amdhsa_user_sgpr_kernarg_segment_ptr 1
		.amdhsa_user_sgpr_dispatch_id 0
		.amdhsa_user_sgpr_flat_scratch_init 1
		.amdhsa_user_sgpr_kernarg_preload_length 0
		.amdhsa_user_sgpr_kernarg_preload_offset 0
		.amdhsa_user_sgpr_private_segment_size 0
		.amdhsa_uses_dynamic_stack 0
		.amdhsa_system_sgpr_private_segment_wavefront_offset 1
		.amdhsa_system_sgpr_workgroup_id_x 1
		.amdhsa_system_sgpr_workgroup_id_y 0
		.amdhsa_system_sgpr_workgroup_id_z 0
		.amdhsa_system_sgpr_workgroup_info 0
		.amdhsa_system_vgpr_workitem_id 0
		.amdhsa_next_free_vgpr 51
		.amdhsa_next_free_sgpr 34
		.amdhsa_accum_offset 52
		.amdhsa_reserve_vcc 1
		.amdhsa_reserve_flat_scratch 1
		.amdhsa_float_round_mode_32 0
		.amdhsa_float_round_mode_16_64 0
		.amdhsa_float_denorm_mode_32 3
		.amdhsa_float_denorm_mode_16_64 3
		.amdhsa_dx10_clamp 1
		.amdhsa_ieee_mode 1
		.amdhsa_fp16_overflow 0
		.amdhsa_tg_split 0
		.amdhsa_exception_fp_ieee_invalid_op 0
		.amdhsa_exception_fp_denorm_src 0
		.amdhsa_exception_fp_ieee_div_zero 0
		.amdhsa_exception_fp_ieee_overflow 0
		.amdhsa_exception_fp_ieee_underflow 0
		.amdhsa_exception_fp_ieee_inexact 0
		.amdhsa_exception_int_div_zero 0
	.end_amdhsa_kernel
	.section	.text._ZN4vllm18act_and_mul_kernelIN3c108BFloat16E15__hip_bfloat162TnPFT_RKS4_EXadL_ZNS_11gelu_kernelIS2_EES4_S6_EETnPFT0_RKSA_EXadL_ZNS_18packed_gelu_kernelIS3_EES4_S6_EELb1ELb1ELb0ELb1EEEvPS4_PS5_if,"axG",@progbits,_ZN4vllm18act_and_mul_kernelIN3c108BFloat16E15__hip_bfloat162TnPFT_RKS4_EXadL_ZNS_11gelu_kernelIS2_EES4_S6_EETnPFT0_RKSA_EXadL_ZNS_18packed_gelu_kernelIS3_EES4_S6_EELb1ELb1ELb0ELb1EEEvPS4_PS5_if,comdat
.Lfunc_end31:
	.size	_ZN4vllm18act_and_mul_kernelIN3c108BFloat16E15__hip_bfloat162TnPFT_RKS4_EXadL_ZNS_11gelu_kernelIS2_EES4_S6_EETnPFT0_RKSA_EXadL_ZNS_18packed_gelu_kernelIS3_EES4_S6_EELb1ELb1ELb0ELb1EEEvPS4_PS5_if, .Lfunc_end31-_ZN4vllm18act_and_mul_kernelIN3c108BFloat16E15__hip_bfloat162TnPFT_RKS4_EXadL_ZNS_11gelu_kernelIS2_EES4_S6_EETnPFT0_RKSA_EXadL_ZNS_18packed_gelu_kernelIS3_EES4_S6_EELb1ELb1ELb0ELb1EEEvPS4_PS5_if
                                        ; -- End function
	.section	.AMDGPU.csdata,"",@progbits
; Kernel info:
; codeLenInByte = 160
; NumSgprs: 40
; NumVgprs: 51
; NumAgprs: 0
; TotalNumVgprs: 51
; ScratchSize: 64
; MemoryBound: 0
; FloatMode: 240
; IeeeMode: 1
; LDSByteSize: 0 bytes/workgroup (compile time only)
; SGPRBlocks: 4
; VGPRBlocks: 6
; NumSGPRsForWavesPerEU: 40
; NumVGPRsForWavesPerEU: 51
; AccumOffset: 52
; Occupancy: 8
; WaveLimiterHint : 1
; COMPUTE_PGM_RSRC2:SCRATCH_EN: 1
; COMPUTE_PGM_RSRC2:USER_SGPR: 8
; COMPUTE_PGM_RSRC2:TRAP_HANDLER: 0
; COMPUTE_PGM_RSRC2:TGID_X_EN: 1
; COMPUTE_PGM_RSRC2:TGID_Y_EN: 0
; COMPUTE_PGM_RSRC2:TGID_Z_EN: 0
; COMPUTE_PGM_RSRC2:TIDIG_COMP_CNT: 0
; COMPUTE_PGM_RSRC3_GFX90A:ACCUM_OFFSET: 12
; COMPUTE_PGM_RSRC3_GFX90A:TG_SPLIT: 0
	.section	.text._ZN4vllm18act_and_mul_kernelIf15HIP_vector_typeIfLj2EETnPFT_RKS3_EXadL_ZNS_11gelu_kernelIfEES3_S5_EETnPFT0_RKS9_EXadL_ZNS_18packed_gelu_kernelIS2_EES3_S5_EELb1ELb1ELb0ELb0EEEvPS3_PS4_if,"axG",@progbits,_ZN4vllm18act_and_mul_kernelIf15HIP_vector_typeIfLj2EETnPFT_RKS3_EXadL_ZNS_11gelu_kernelIfEES3_S5_EETnPFT0_RKS9_EXadL_ZNS_18packed_gelu_kernelIS2_EES3_S5_EELb1ELb1ELb0ELb0EEEvPS3_PS4_if,comdat
	.protected	_ZN4vllm18act_and_mul_kernelIf15HIP_vector_typeIfLj2EETnPFT_RKS3_EXadL_ZNS_11gelu_kernelIfEES3_S5_EETnPFT0_RKS9_EXadL_ZNS_18packed_gelu_kernelIS2_EES3_S5_EELb1ELb1ELb0ELb0EEEvPS3_PS4_if ; -- Begin function _ZN4vllm18act_and_mul_kernelIf15HIP_vector_typeIfLj2EETnPFT_RKS3_EXadL_ZNS_11gelu_kernelIfEES3_S5_EETnPFT0_RKS9_EXadL_ZNS_18packed_gelu_kernelIS2_EES3_S5_EELb1ELb1ELb0ELb0EEEvPS3_PS4_if
	.globl	_ZN4vllm18act_and_mul_kernelIf15HIP_vector_typeIfLj2EETnPFT_RKS3_EXadL_ZNS_11gelu_kernelIfEES3_S5_EETnPFT0_RKS9_EXadL_ZNS_18packed_gelu_kernelIS2_EES3_S5_EELb1ELb1ELb0ELb0EEEvPS3_PS4_if
	.p2align	8
	.type	_ZN4vllm18act_and_mul_kernelIf15HIP_vector_typeIfLj2EETnPFT_RKS3_EXadL_ZNS_11gelu_kernelIfEES3_S5_EETnPFT0_RKS9_EXadL_ZNS_18packed_gelu_kernelIS2_EES3_S5_EELb1ELb1ELb0ELb0EEEvPS3_PS4_if,@function
_ZN4vllm18act_and_mul_kernelIf15HIP_vector_typeIfLj2EETnPFT_RKS3_EXadL_ZNS_11gelu_kernelIfEES3_S5_EETnPFT0_RKS9_EXadL_ZNS_18packed_gelu_kernelIS2_EES3_S5_EELb1ELb1ELb0ELb0EEEvPS3_PS4_if: ; @_ZN4vllm18act_and_mul_kernelIf15HIP_vector_typeIfLj2EETnPFT_RKS3_EXadL_ZNS_11gelu_kernelIfEES3_S5_EETnPFT0_RKS9_EXadL_ZNS_18packed_gelu_kernelIS2_EES3_S5_EELb1ELb1ELb0ELb0EEEvPS3_PS4_if
; %bb.0:
	s_load_dword s0, s[4:5], 0x10
	s_waitcnt lgkmcnt(0)
	s_ashr_i32 s1, s0, 31
	s_lshr_b32 s2, s1, 30
	s_add_i32 s2, s0, s2
	s_ashr_i32 s7, s2, 2
	v_cmp_gt_i32_e32 vcc, s7, v0
	s_and_saveexec_b64 s[2:3], vcc
	s_cbranch_execz .LBB32_19
; %bb.1:
	s_load_dwordx4 s[12:15], s[4:5], 0x0
	s_load_dword s8, s[4:5], 0x24
	s_mul_i32 s2, s6, s0
	s_lshl_b32 s4, s2, 1
	s_mov_b32 s5, 0
	s_mov_b32 s3, s5
	s_waitcnt lgkmcnt(0)
	s_and_b32 s6, s8, 0xffff
	s_lshl_b64 s[4:5], s[4:5], 2
	s_add_u32 s4, s14, s4
	v_lshlrev_b32_e32 v2, 4, v0
	s_addc_u32 s5, s15, s5
	v_mov_b32_e32 v3, s5
	v_add_co_u32_e32 v1, vcc, s4, v2
	v_addc_co_u32_e32 v10, vcc, 0, v3, vcc
	s_lshl_b64 s[0:1], s[0:1], 2
	s_lshl_b32 s8, s6, 4
	v_mov_b32_e32 v3, s1
	v_add_co_u32_e32 v11, vcc, s0, v1
	s_lshl_b64 s[0:1], s[2:3], 2
	s_add_u32 s0, s12, s0
	v_addc_co_u32_e32 v12, vcc, v10, v3, vcc
	s_addc_u32 s1, s13, s1
	v_mov_b32_e32 v3, s1
	v_add_co_u32_e32 v13, vcc, s0, v2
	v_addc_co_u32_e32 v14, vcc, 0, v3, vcc
	s_mov_b64 s[0:1], 0
	s_mov_b32 s9, 0x378e98ab
	s_mov_b32 s10, 0x3b7cd369
	;; [unrolled: 1-line block ×9, first 2 shown]
	v_mov_b32_e32 v15, 0xbcdac9b8
	v_mov_b32_e32 v16, 0x3de703be
	;; [unrolled: 1-line block ×4, first 2 shown]
	s_brev_b32 s18, -2
	v_mov_b32_e32 v19, 0xb9c68948
	v_mov_b32_e32 v20, 0x7f800000
	s_mov_b64 s[2:3], 0
	s_branch .LBB32_3
.LBB32_2:                               ;   in Loop: Header=BB32_3 Depth=1
	s_or_b64 exec, exec, s[4:5]
	v_bfi_b32 v23, s18, v24, v23
	v_bfi_b32 v22, s18, v22, v21
	v_pk_mul_f32 v[6:7], v[6:7], 0.5 op_sel_hi:[1,0]
	v_pk_add_f32 v[22:23], v[22:23], 1.0 op_sel_hi:[1,0]
	v_pk_mul_f32 v[6:7], v[6:7], v[22:23]
	v_bfi_b32 v27, s18, v28, v27
	v_bfi_b32 v26, s18, v26, v25
	s_waitcnt vmcnt(0)
	v_pk_mul_f32 v[2:3], v[6:7], v[2:3]
	v_mov_b32_e32 v7, s3
	v_add_co_u32_e32 v6, vcc, s2, v13
	v_pk_mul_f32 v[8:9], v[8:9], 0.5 op_sel_hi:[1,0]
	v_pk_add_f32 v[24:25], v[26:27], 1.0 op_sel_hi:[1,0]
	v_addc_co_u32_e32 v7, vcc, v14, v7, vcc
	v_add_u32_e32 v0, s6, v0
	s_add_u32 s2, s2, s8
	v_pk_mul_f32 v[8:9], v[8:9], v[24:25]
	s_addc_u32 s3, s3, 0
	v_cmp_le_i32_e32 vcc, s7, v0
	v_pk_mul_f32 v[4:5], v[8:9], v[4:5]
	s_or_b64 s[0:1], vcc, s[0:1]
	global_store_dwordx4 v[6:7], v[2:5], off
	s_andn2_b64 exec, exec, s[0:1]
	s_cbranch_execz .LBB32_19
.LBB32_3:                               ; =>This Inner Loop Header: Depth=1
	v_mov_b32_e32 v4, s3
	v_add_co_u32_e32 v2, vcc, s2, v1
	v_addc_co_u32_e32 v3, vcc, v10, v4, vcc
	global_load_dwordx4 v[6:9], v[2:3], off
	v_add_co_u32_e32 v2, vcc, s2, v11
	v_addc_co_u32_e32 v3, vcc, v12, v4, vcc
	global_load_dwordx4 v[2:5], v[2:3], off
                                        ; implicit-def: $vgpr22
	s_waitcnt vmcnt(1)
	v_mul_f32_e32 v21, 0x3f3504f3, v6
	v_cmp_nlt_f32_e64 s[4:5], |v21|, 1.0
	s_and_saveexec_b64 s[20:21], s[4:5]
	s_xor_b64 s[4:5], exec, s[20:21]
	s_cbranch_execz .LBB32_5
; %bb.4:                                ;   in Loop: Header=BB32_3 Depth=1
	v_fma_f32 v22, |v21|, s9, v19
	v_fma_f32 v22, |v21|, v22, s10
	;; [unrolled: 1-line block ×6, first 2 shown]
	v_fma_f32 v22, |v21|, v22, |v21|
	v_mul_f32_e32 v23, 0xbfb8aa3b, v22
	v_fma_f32 v24, v22, s15, -v23
	v_rndne_f32_e32 v25, v23
	v_fmac_f32_e32 v24, 0xb2a5705f, v22
	v_sub_f32_e32 v23, v23, v25
	v_add_f32_e32 v23, v23, v24
	v_cvt_i32_f32_e32 v24, v25
	v_exp_f32_e32 v23, v23
	v_cmp_nlt_f32_e32 vcc, s16, v22
	v_ldexp_f32 v23, v23, v24
	v_cndmask_b32_e32 v23, 0, v23, vcc
	v_cmp_ngt_f32_e32 vcc, s17, v22
	v_cndmask_b32_e32 v22, v20, v23, vcc
	v_sub_f32_e32 v22, 1.0, v22
.LBB32_5:                               ;   in Loop: Header=BB32_3 Depth=1
	s_andn2_saveexec_b64 s[4:5], s[4:5]
; %bb.6:                                ;   in Loop: Header=BB32_3 Depth=1
	v_mul_f32_e32 v22, v21, v21
	v_mov_b32_e32 v23, 0x3ba10414
	v_fmac_f32_e32 v23, 0xba1345e1, v22
	v_fma_f32 v23, v22, v23, v15
	v_fma_f32 v23, v22, v23, v16
	;; [unrolled: 1-line block ×4, first 2 shown]
	v_fma_f32 v22, |v21|, v22, |v21|
; %bb.7:                                ;   in Loop: Header=BB32_3 Depth=1
	s_or_b64 exec, exec, s[4:5]
	v_mul_f32_e32 v23, 0x3f3504f3, v7
	v_cmp_nlt_f32_e64 s[4:5], |v23|, 1.0
                                        ; implicit-def: $vgpr24
	s_and_saveexec_b64 s[20:21], s[4:5]
	s_xor_b64 s[4:5], exec, s[20:21]
	s_cbranch_execz .LBB32_9
; %bb.8:                                ;   in Loop: Header=BB32_3 Depth=1
	v_fma_f32 v24, |v23|, s9, v19
	v_fma_f32 v24, |v23|, v24, s10
	;; [unrolled: 1-line block ×6, first 2 shown]
	v_fma_f32 v24, |v23|, v24, |v23|
	v_mul_f32_e32 v25, 0xbfb8aa3b, v24
	v_fma_f32 v26, v24, s15, -v25
	v_rndne_f32_e32 v27, v25
	v_fmac_f32_e32 v26, 0xb2a5705f, v24
	v_sub_f32_e32 v25, v25, v27
	v_add_f32_e32 v25, v25, v26
	v_cvt_i32_f32_e32 v26, v27
	v_exp_f32_e32 v25, v25
	v_cmp_nlt_f32_e32 vcc, s16, v24
	v_ldexp_f32 v25, v25, v26
	v_cndmask_b32_e32 v25, 0, v25, vcc
	v_cmp_ngt_f32_e32 vcc, s17, v24
	v_cndmask_b32_e32 v24, v20, v25, vcc
	v_sub_f32_e32 v24, 1.0, v24
.LBB32_9:                               ;   in Loop: Header=BB32_3 Depth=1
	s_andn2_saveexec_b64 s[4:5], s[4:5]
; %bb.10:                               ;   in Loop: Header=BB32_3 Depth=1
	v_mul_f32_e32 v24, v23, v23
	v_mov_b32_e32 v25, 0x3ba10414
	v_fmac_f32_e32 v25, 0xba1345e1, v24
	v_fma_f32 v25, v24, v25, v15
	v_fma_f32 v25, v24, v25, v16
	;; [unrolled: 1-line block ×4, first 2 shown]
	v_fma_f32 v24, |v23|, v24, |v23|
; %bb.11:                               ;   in Loop: Header=BB32_3 Depth=1
	s_or_b64 exec, exec, s[4:5]
	v_mul_f32_e32 v25, 0x3f3504f3, v8
	v_cmp_nlt_f32_e64 s[4:5], |v25|, 1.0
                                        ; implicit-def: $vgpr26
	s_and_saveexec_b64 s[20:21], s[4:5]
	s_xor_b64 s[4:5], exec, s[20:21]
	s_cbranch_execz .LBB32_13
; %bb.12:                               ;   in Loop: Header=BB32_3 Depth=1
	v_fma_f32 v26, |v25|, s9, v19
	v_fma_f32 v26, |v25|, v26, s10
	;; [unrolled: 1-line block ×6, first 2 shown]
	v_fma_f32 v26, |v25|, v26, |v25|
	v_mul_f32_e32 v27, 0xbfb8aa3b, v26
	v_fma_f32 v28, v26, s15, -v27
	v_rndne_f32_e32 v29, v27
	v_fmac_f32_e32 v28, 0xb2a5705f, v26
	v_sub_f32_e32 v27, v27, v29
	v_add_f32_e32 v27, v27, v28
	v_cvt_i32_f32_e32 v28, v29
	v_exp_f32_e32 v27, v27
	v_cmp_nlt_f32_e32 vcc, s16, v26
	v_ldexp_f32 v27, v27, v28
	v_cndmask_b32_e32 v27, 0, v27, vcc
	v_cmp_ngt_f32_e32 vcc, s17, v26
	v_cndmask_b32_e32 v26, v20, v27, vcc
	v_sub_f32_e32 v26, 1.0, v26
.LBB32_13:                              ;   in Loop: Header=BB32_3 Depth=1
	s_andn2_saveexec_b64 s[4:5], s[4:5]
; %bb.14:                               ;   in Loop: Header=BB32_3 Depth=1
	v_mul_f32_e32 v26, v25, v25
	v_mov_b32_e32 v27, 0x3ba10414
	v_fmac_f32_e32 v27, 0xba1345e1, v26
	v_fma_f32 v27, v26, v27, v15
	v_fma_f32 v27, v26, v27, v16
	;; [unrolled: 1-line block ×4, first 2 shown]
	v_fma_f32 v26, |v25|, v26, |v25|
; %bb.15:                               ;   in Loop: Header=BB32_3 Depth=1
	s_or_b64 exec, exec, s[4:5]
	v_mul_f32_e32 v27, 0x3f3504f3, v9
	v_cmp_nlt_f32_e64 s[4:5], |v27|, 1.0
                                        ; implicit-def: $vgpr28
	s_and_saveexec_b64 s[20:21], s[4:5]
	s_xor_b64 s[4:5], exec, s[20:21]
	s_cbranch_execz .LBB32_17
; %bb.16:                               ;   in Loop: Header=BB32_3 Depth=1
	v_fma_f32 v28, |v27|, s9, v19
	v_fma_f32 v28, |v27|, v28, s10
	;; [unrolled: 1-line block ×6, first 2 shown]
	v_fma_f32 v28, |v27|, v28, |v27|
	v_mul_f32_e32 v29, 0xbfb8aa3b, v28
	v_fma_f32 v30, v28, s15, -v29
	v_rndne_f32_e32 v31, v29
	v_fmac_f32_e32 v30, 0xb2a5705f, v28
	v_sub_f32_e32 v29, v29, v31
	v_add_f32_e32 v29, v29, v30
	v_cvt_i32_f32_e32 v30, v31
	v_exp_f32_e32 v29, v29
	v_cmp_nlt_f32_e32 vcc, s16, v28
	v_ldexp_f32 v29, v29, v30
	v_cndmask_b32_e32 v29, 0, v29, vcc
	v_cmp_ngt_f32_e32 vcc, s17, v28
	v_cndmask_b32_e32 v28, v20, v29, vcc
	v_sub_f32_e32 v28, 1.0, v28
.LBB32_17:                              ;   in Loop: Header=BB32_3 Depth=1
	s_andn2_saveexec_b64 s[4:5], s[4:5]
	s_cbranch_execz .LBB32_2
; %bb.18:                               ;   in Loop: Header=BB32_3 Depth=1
	v_mul_f32_e32 v28, v27, v27
	v_mov_b32_e32 v29, 0x3ba10414
	v_fmac_f32_e32 v29, 0xba1345e1, v28
	v_fma_f32 v29, v28, v29, v15
	v_fma_f32 v29, v28, v29, v16
	;; [unrolled: 1-line block ×4, first 2 shown]
	v_fma_f32 v28, |v27|, v28, |v27|
	s_branch .LBB32_2
.LBB32_19:
	s_endpgm
	.section	.rodata,"a",@progbits
	.p2align	6, 0x0
	.amdhsa_kernel _ZN4vllm18act_and_mul_kernelIf15HIP_vector_typeIfLj2EETnPFT_RKS3_EXadL_ZNS_11gelu_kernelIfEES3_S5_EETnPFT0_RKS9_EXadL_ZNS_18packed_gelu_kernelIS2_EES3_S5_EELb1ELb1ELb0ELb0EEEvPS3_PS4_if
		.amdhsa_group_segment_fixed_size 0
		.amdhsa_private_segment_fixed_size 0
		.amdhsa_kernarg_size 280
		.amdhsa_user_sgpr_count 6
		.amdhsa_user_sgpr_private_segment_buffer 1
		.amdhsa_user_sgpr_dispatch_ptr 0
		.amdhsa_user_sgpr_queue_ptr 0
		.amdhsa_user_sgpr_kernarg_segment_ptr 1
		.amdhsa_user_sgpr_dispatch_id 0
		.amdhsa_user_sgpr_flat_scratch_init 0
		.amdhsa_user_sgpr_kernarg_preload_length 0
		.amdhsa_user_sgpr_kernarg_preload_offset 0
		.amdhsa_user_sgpr_private_segment_size 0
		.amdhsa_uses_dynamic_stack 0
		.amdhsa_system_sgpr_private_segment_wavefront_offset 0
		.amdhsa_system_sgpr_workgroup_id_x 1
		.amdhsa_system_sgpr_workgroup_id_y 0
		.amdhsa_system_sgpr_workgroup_id_z 0
		.amdhsa_system_sgpr_workgroup_info 0
		.amdhsa_system_vgpr_workitem_id 0
		.amdhsa_next_free_vgpr 32
		.amdhsa_next_free_sgpr 22
		.amdhsa_accum_offset 32
		.amdhsa_reserve_vcc 1
		.amdhsa_reserve_flat_scratch 0
		.amdhsa_float_round_mode_32 0
		.amdhsa_float_round_mode_16_64 0
		.amdhsa_float_denorm_mode_32 3
		.amdhsa_float_denorm_mode_16_64 3
		.amdhsa_dx10_clamp 1
		.amdhsa_ieee_mode 1
		.amdhsa_fp16_overflow 0
		.amdhsa_tg_split 0
		.amdhsa_exception_fp_ieee_invalid_op 0
		.amdhsa_exception_fp_denorm_src 0
		.amdhsa_exception_fp_ieee_div_zero 0
		.amdhsa_exception_fp_ieee_overflow 0
		.amdhsa_exception_fp_ieee_underflow 0
		.amdhsa_exception_fp_ieee_inexact 0
		.amdhsa_exception_int_div_zero 0
	.end_amdhsa_kernel
	.section	.text._ZN4vllm18act_and_mul_kernelIf15HIP_vector_typeIfLj2EETnPFT_RKS3_EXadL_ZNS_11gelu_kernelIfEES3_S5_EETnPFT0_RKS9_EXadL_ZNS_18packed_gelu_kernelIS2_EES3_S5_EELb1ELb1ELb0ELb0EEEvPS3_PS4_if,"axG",@progbits,_ZN4vllm18act_and_mul_kernelIf15HIP_vector_typeIfLj2EETnPFT_RKS3_EXadL_ZNS_11gelu_kernelIfEES3_S5_EETnPFT0_RKS9_EXadL_ZNS_18packed_gelu_kernelIS2_EES3_S5_EELb1ELb1ELb0ELb0EEEvPS3_PS4_if,comdat
.Lfunc_end32:
	.size	_ZN4vllm18act_and_mul_kernelIf15HIP_vector_typeIfLj2EETnPFT_RKS3_EXadL_ZNS_11gelu_kernelIfEES3_S5_EETnPFT0_RKS9_EXadL_ZNS_18packed_gelu_kernelIS2_EES3_S5_EELb1ELb1ELb0ELb0EEEvPS3_PS4_if, .Lfunc_end32-_ZN4vllm18act_and_mul_kernelIf15HIP_vector_typeIfLj2EETnPFT_RKS3_EXadL_ZNS_11gelu_kernelIfEES3_S5_EETnPFT0_RKS9_EXadL_ZNS_18packed_gelu_kernelIS2_EES3_S5_EELb1ELb1ELb0ELb0EEEvPS3_PS4_if
                                        ; -- End function
	.section	.AMDGPU.csdata,"",@progbits
; Kernel info:
; codeLenInByte = 1388
; NumSgprs: 26
; NumVgprs: 32
; NumAgprs: 0
; TotalNumVgprs: 32
; ScratchSize: 0
; MemoryBound: 0
; FloatMode: 240
; IeeeMode: 1
; LDSByteSize: 0 bytes/workgroup (compile time only)
; SGPRBlocks: 3
; VGPRBlocks: 3
; NumSGPRsForWavesPerEU: 26
; NumVGPRsForWavesPerEU: 32
; AccumOffset: 32
; Occupancy: 8
; WaveLimiterHint : 0
; COMPUTE_PGM_RSRC2:SCRATCH_EN: 0
; COMPUTE_PGM_RSRC2:USER_SGPR: 6
; COMPUTE_PGM_RSRC2:TRAP_HANDLER: 0
; COMPUTE_PGM_RSRC2:TGID_X_EN: 1
; COMPUTE_PGM_RSRC2:TGID_Y_EN: 0
; COMPUTE_PGM_RSRC2:TGID_Z_EN: 0
; COMPUTE_PGM_RSRC2:TIDIG_COMP_CNT: 0
; COMPUTE_PGM_RSRC3_GFX90A:ACCUM_OFFSET: 7
; COMPUTE_PGM_RSRC3_GFX90A:TG_SPLIT: 0
	.section	.text._ZN4vllm18act_and_mul_kernelIN3c104HalfE7__half2TnPFT_RKS4_EXadL_ZNS_11gelu_kernelIS2_EES4_S6_EETnPFT0_RKSA_EXadL_ZNS_18packed_gelu_kernelIS3_EES4_S6_EELb1ELb1ELb0ELb0EEEvPS4_PS5_if,"axG",@progbits,_ZN4vllm18act_and_mul_kernelIN3c104HalfE7__half2TnPFT_RKS4_EXadL_ZNS_11gelu_kernelIS2_EES4_S6_EETnPFT0_RKSA_EXadL_ZNS_18packed_gelu_kernelIS3_EES4_S6_EELb1ELb1ELb0ELb0EEEvPS4_PS5_if,comdat
	.protected	_ZN4vllm18act_and_mul_kernelIN3c104HalfE7__half2TnPFT_RKS4_EXadL_ZNS_11gelu_kernelIS2_EES4_S6_EETnPFT0_RKSA_EXadL_ZNS_18packed_gelu_kernelIS3_EES4_S6_EELb1ELb1ELb0ELb0EEEvPS4_PS5_if ; -- Begin function _ZN4vllm18act_and_mul_kernelIN3c104HalfE7__half2TnPFT_RKS4_EXadL_ZNS_11gelu_kernelIS2_EES4_S6_EETnPFT0_RKSA_EXadL_ZNS_18packed_gelu_kernelIS3_EES4_S6_EELb1ELb1ELb0ELb0EEEvPS4_PS5_if
	.globl	_ZN4vllm18act_and_mul_kernelIN3c104HalfE7__half2TnPFT_RKS4_EXadL_ZNS_11gelu_kernelIS2_EES4_S6_EETnPFT0_RKSA_EXadL_ZNS_18packed_gelu_kernelIS3_EES4_S6_EELb1ELb1ELb0ELb0EEEvPS4_PS5_if
	.p2align	8
	.type	_ZN4vllm18act_and_mul_kernelIN3c104HalfE7__half2TnPFT_RKS4_EXadL_ZNS_11gelu_kernelIS2_EES4_S6_EETnPFT0_RKSA_EXadL_ZNS_18packed_gelu_kernelIS3_EES4_S6_EELb1ELb1ELb0ELb0EEEvPS4_PS5_if,@function
_ZN4vllm18act_and_mul_kernelIN3c104HalfE7__half2TnPFT_RKS4_EXadL_ZNS_11gelu_kernelIS2_EES4_S6_EETnPFT0_RKSA_EXadL_ZNS_18packed_gelu_kernelIS3_EES4_S6_EELb1ELb1ELb0ELb0EEEvPS4_PS5_if: ; @_ZN4vllm18act_and_mul_kernelIN3c104HalfE7__half2TnPFT_RKS4_EXadL_ZNS_11gelu_kernelIS2_EES4_S6_EETnPFT0_RKSA_EXadL_ZNS_18packed_gelu_kernelIS3_EES4_S6_EELb1ELb1ELb0ELb0EEEvPS4_PS5_if
; %bb.0:
	s_load_dword s0, s[4:5], 0x10
	s_waitcnt lgkmcnt(0)
	s_ashr_i32 s1, s0, 31
	s_lshr_b32 s2, s1, 29
	s_add_i32 s2, s0, s2
	s_ashr_i32 s7, s2, 3
	v_cmp_gt_i32_e32 vcc, s7, v0
	s_and_saveexec_b64 s[2:3], vcc
	s_cbranch_execz .LBB33_35
; %bb.1:
	s_load_dwordx4 s[12:15], s[4:5], 0x0
	s_load_dword s8, s[4:5], 0x24
	s_mul_i32 s2, s6, s0
	s_lshl_b32 s4, s2, 1
	s_mov_b32 s5, 0
	s_mov_b32 s3, s5
	s_waitcnt lgkmcnt(0)
	s_and_b32 s6, s8, 0xffff
	s_lshl_b64 s[4:5], s[4:5], 1
	s_add_u32 s4, s14, s4
	v_lshlrev_b32_e32 v2, 4, v0
	s_addc_u32 s5, s15, s5
	v_mov_b32_e32 v3, s5
	v_add_co_u32_e32 v1, vcc, s4, v2
	v_addc_co_u32_e32 v14, vcc, 0, v3, vcc
	s_lshl_b64 s[0:1], s[0:1], 1
	s_lshl_b32 s8, s6, 4
	v_mov_b32_e32 v3, s1
	v_add_co_u32_e32 v15, vcc, s0, v1
	s_lshl_b64 s[0:1], s[2:3], 1
	s_add_u32 s0, s12, s0
	v_addc_co_u32_e32 v16, vcc, v14, v3, vcc
	s_addc_u32 s1, s13, s1
	v_mov_b32_e32 v3, s1
	v_add_co_u32_e32 v17, vcc, s0, v2
	v_addc_co_u32_e32 v18, vcc, 0, v3, vcc
	s_mov_b64 s[0:1], 0
	s_mov_b32 s9, 0x378e98ab
	s_mov_b32 s10, 0x3b7cd369
	;; [unrolled: 1-line block ×9, first 2 shown]
	v_mov_b32_e32 v19, 0xbcdac9b8
	v_mov_b32_e32 v20, 0x3de703be
	;; [unrolled: 1-line block ×4, first 2 shown]
	s_brev_b32 s18, -2
	v_mov_b32_e32 v23, 0xb9c68948
	v_mov_b32_e32 v24, 0x7f800000
	s_mov_b64 s[2:3], 0
	s_branch .LBB33_3
.LBB33_2:                               ;   in Loop: Header=BB33_3 Depth=1
	s_or_b64 exec, exec, s[4:5]
	v_bfi_b32 v27, s18, v28, v27
	v_bfi_b32 v26, s18, v26, v25
	v_pk_mul_f32 v[10:11], v[10:11], 0.5 op_sel_hi:[1,0]
	v_pk_add_f32 v[26:27], v[26:27], 1.0 op_sel_hi:[1,0]
	v_pk_mul_f32 v[10:11], v[10:11], v[26:27]
	v_cvt_f16_f32_e32 v25, v11
	v_cvt_f16_f32_e32 v26, v10
	v_bfi_b32 v11, s18, v32, v31
	v_bfi_b32 v10, s18, v30, v29
	v_pk_mul_f32 v[6:7], v[6:7], 0.5 op_sel_hi:[1,0]
	v_pk_add_f32 v[10:11], v[10:11], 1.0 op_sel_hi:[1,0]
	v_pk_mul_f32 v[6:7], v[6:7], v[10:11]
	v_cvt_f16_f32_e32 v7, v7
	v_cvt_f16_f32_e32 v6, v6
	v_pack_b32_f16 v10, v26, v25
	s_waitcnt vmcnt(0)
	v_pk_mul_f16 v2, v10, v2
	v_bfi_b32 v11, s18, v36, v35
	v_bfi_b32 v10, s18, v34, v33
	v_pack_b32_f16 v25, v6, v7
	v_pk_mul_f32 v[6:7], v[12:13], 0.5 op_sel_hi:[1,0]
	v_pk_add_f32 v[10:11], v[10:11], 1.0 op_sel_hi:[1,0]
	v_pk_mul_f32 v[6:7], v[6:7], v[10:11]
	v_cvt_f16_f32_e32 v10, v7
	v_cvt_f16_f32_e32 v11, v6
	v_pk_mul_f32 v[6:7], v[8:9], 0.5 op_sel_hi:[1,0]
	v_bfi_b32 v9, s18, v40, v39
	v_bfi_b32 v8, s18, v38, v37
	v_pk_add_f32 v[8:9], v[8:9], 1.0 op_sel_hi:[1,0]
	v_pk_mul_f32 v[6:7], v[6:7], v[8:9]
	v_cvt_f16_f32_e32 v7, v7
	v_cvt_f16_f32_e32 v6, v6
	v_add_u32_e32 v0, s6, v0
	v_pack_b32_f16 v8, v11, v10
	v_pk_mul_f16 v3, v25, v3
	v_pack_b32_f16 v6, v6, v7
	v_pk_mul_f16 v5, v6, v5
	v_mov_b32_e32 v7, s3
	v_add_co_u32_e32 v6, vcc, s2, v17
	v_addc_co_u32_e32 v7, vcc, v18, v7, vcc
	s_add_u32 s2, s2, s8
	s_addc_u32 s3, s3, 0
	v_cmp_le_i32_e32 vcc, s7, v0
	v_pk_mul_f16 v4, v8, v4
	s_or_b64 s[0:1], vcc, s[0:1]
	global_store_dwordx4 v[6:7], v[2:5], off
	s_andn2_b64 exec, exec, s[0:1]
	s_cbranch_execz .LBB33_35
.LBB33_3:                               ; =>This Inner Loop Header: Depth=1
	v_mov_b32_e32 v4, s3
	v_add_co_u32_e32 v2, vcc, s2, v1
	v_addc_co_u32_e32 v3, vcc, v14, v4, vcc
	global_load_dwordx4 v[6:9], v[2:3], off
	v_add_co_u32_e32 v2, vcc, s2, v15
	v_addc_co_u32_e32 v3, vcc, v16, v4, vcc
	global_load_dwordx4 v[2:5], v[2:3], off
                                        ; implicit-def: $vgpr26
	s_waitcnt vmcnt(1)
	v_cvt_f32_f16_e32 v10, v6
	v_mul_f32_e32 v25, 0x3f3504f3, v10
	v_cmp_nlt_f32_e64 s[4:5], |v25|, 1.0
	s_and_saveexec_b64 s[20:21], s[4:5]
	s_xor_b64 s[4:5], exec, s[20:21]
	s_cbranch_execz .LBB33_5
; %bb.4:                                ;   in Loop: Header=BB33_3 Depth=1
	v_fma_f32 v11, |v25|, s9, v23
	v_fma_f32 v11, |v25|, v11, s10
	;; [unrolled: 1-line block ×6, first 2 shown]
	v_fma_f32 v11, |v25|, v11, |v25|
	v_mul_f32_e32 v12, 0xbfb8aa3b, v11
	v_fma_f32 v13, v11, s15, -v12
	v_rndne_f32_e32 v26, v12
	v_fmac_f32_e32 v13, 0xb2a5705f, v11
	v_sub_f32_e32 v12, v12, v26
	v_add_f32_e32 v12, v12, v13
	v_cvt_i32_f32_e32 v13, v26
	v_exp_f32_e32 v12, v12
	v_cmp_nlt_f32_e32 vcc, s16, v11
	v_ldexp_f32 v12, v12, v13
	v_cndmask_b32_e32 v12, 0, v12, vcc
	v_cmp_ngt_f32_e32 vcc, s17, v11
	v_cndmask_b32_e32 v11, v24, v12, vcc
	v_sub_f32_e32 v26, 1.0, v11
.LBB33_5:                               ;   in Loop: Header=BB33_3 Depth=1
	s_andn2_saveexec_b64 s[4:5], s[4:5]
; %bb.6:                                ;   in Loop: Header=BB33_3 Depth=1
	v_mul_f32_e32 v11, v25, v25
	v_mov_b32_e32 v12, 0x3ba10414
	v_fmac_f32_e32 v12, 0xba1345e1, v11
	v_fma_f32 v12, v11, v12, v19
	v_fma_f32 v12, v11, v12, v20
	;; [unrolled: 1-line block ×4, first 2 shown]
	v_fma_f32 v26, |v25|, v11, |v25|
; %bb.7:                                ;   in Loop: Header=BB33_3 Depth=1
	s_or_b64 exec, exec, s[4:5]
	v_cvt_f32_f16_sdwa v11, v6 dst_sel:DWORD dst_unused:UNUSED_PAD src0_sel:WORD_1
                                        ; implicit-def: $vgpr28
	v_mul_f32_e32 v27, 0x3f3504f3, v11
	v_cmp_nlt_f32_e64 s[4:5], |v27|, 1.0
	s_and_saveexec_b64 s[20:21], s[4:5]
	s_xor_b64 s[4:5], exec, s[20:21]
	s_cbranch_execz .LBB33_9
; %bb.8:                                ;   in Loop: Header=BB33_3 Depth=1
	v_fma_f32 v6, |v27|, s9, v23
	v_fma_f32 v6, |v27|, v6, s10
	;; [unrolled: 1-line block ×6, first 2 shown]
	v_fma_f32 v6, |v27|, v6, |v27|
	v_mul_f32_e32 v12, 0xbfb8aa3b, v6
	v_fma_f32 v13, v6, s15, -v12
	v_rndne_f32_e32 v28, v12
	v_fmac_f32_e32 v13, 0xb2a5705f, v6
	v_sub_f32_e32 v12, v12, v28
	v_add_f32_e32 v12, v12, v13
	v_cvt_i32_f32_e32 v13, v28
	v_exp_f32_e32 v12, v12
	v_cmp_nlt_f32_e32 vcc, s16, v6
	v_ldexp_f32 v12, v12, v13
	v_cndmask_b32_e32 v12, 0, v12, vcc
	v_cmp_ngt_f32_e32 vcc, s17, v6
	v_cndmask_b32_e32 v6, v24, v12, vcc
	v_sub_f32_e32 v28, 1.0, v6
.LBB33_9:                               ;   in Loop: Header=BB33_3 Depth=1
	s_andn2_saveexec_b64 s[4:5], s[4:5]
; %bb.10:                               ;   in Loop: Header=BB33_3 Depth=1
	v_mul_f32_e32 v6, v27, v27
	v_mov_b32_e32 v12, 0x3ba10414
	v_fmac_f32_e32 v12, 0xba1345e1, v6
	v_fma_f32 v12, v6, v12, v19
	v_fma_f32 v12, v6, v12, v20
	;; [unrolled: 1-line block ×4, first 2 shown]
	v_fma_f32 v28, |v27|, v6, |v27|
; %bb.11:                               ;   in Loop: Header=BB33_3 Depth=1
	s_or_b64 exec, exec, s[4:5]
	v_cvt_f32_f16_e32 v6, v7
                                        ; implicit-def: $vgpr30
	v_mul_f32_e32 v29, 0x3f3504f3, v6
	v_cmp_nlt_f32_e64 s[4:5], |v29|, 1.0
	s_and_saveexec_b64 s[20:21], s[4:5]
	s_xor_b64 s[4:5], exec, s[20:21]
	s_cbranch_execz .LBB33_13
; %bb.12:                               ;   in Loop: Header=BB33_3 Depth=1
	v_fma_f32 v12, |v29|, s9, v23
	v_fma_f32 v12, |v29|, v12, s10
	;; [unrolled: 1-line block ×6, first 2 shown]
	v_fma_f32 v12, |v29|, v12, |v29|
	v_mul_f32_e32 v13, 0xbfb8aa3b, v12
	v_fma_f32 v30, v12, s15, -v13
	v_rndne_f32_e32 v31, v13
	v_fmac_f32_e32 v30, 0xb2a5705f, v12
	v_sub_f32_e32 v13, v13, v31
	v_add_f32_e32 v13, v13, v30
	v_cvt_i32_f32_e32 v30, v31
	v_exp_f32_e32 v13, v13
	v_cmp_nlt_f32_e32 vcc, s16, v12
	v_ldexp_f32 v13, v13, v30
	v_cndmask_b32_e32 v13, 0, v13, vcc
	v_cmp_ngt_f32_e32 vcc, s17, v12
	v_cndmask_b32_e32 v12, v24, v13, vcc
	v_sub_f32_e32 v30, 1.0, v12
.LBB33_13:                              ;   in Loop: Header=BB33_3 Depth=1
	s_andn2_saveexec_b64 s[4:5], s[4:5]
; %bb.14:                               ;   in Loop: Header=BB33_3 Depth=1
	v_mul_f32_e32 v12, v29, v29
	v_mov_b32_e32 v13, 0x3ba10414
	v_fmac_f32_e32 v13, 0xba1345e1, v12
	v_fma_f32 v13, v12, v13, v19
	v_fma_f32 v13, v12, v13, v20
	;; [unrolled: 1-line block ×4, first 2 shown]
	v_fma_f32 v30, |v29|, v12, |v29|
; %bb.15:                               ;   in Loop: Header=BB33_3 Depth=1
	s_or_b64 exec, exec, s[4:5]
	v_cvt_f32_f16_sdwa v7, v7 dst_sel:DWORD dst_unused:UNUSED_PAD src0_sel:WORD_1
                                        ; implicit-def: $vgpr32
	v_mul_f32_e32 v31, 0x3f3504f3, v7
	v_cmp_nlt_f32_e64 s[4:5], |v31|, 1.0
	s_and_saveexec_b64 s[20:21], s[4:5]
	s_xor_b64 s[4:5], exec, s[20:21]
	s_cbranch_execz .LBB33_17
; %bb.16:                               ;   in Loop: Header=BB33_3 Depth=1
	v_fma_f32 v12, |v31|, s9, v23
	v_fma_f32 v12, |v31|, v12, s10
	;; [unrolled: 1-line block ×6, first 2 shown]
	v_fma_f32 v12, |v31|, v12, |v31|
	v_mul_f32_e32 v13, 0xbfb8aa3b, v12
	v_fma_f32 v32, v12, s15, -v13
	v_rndne_f32_e32 v33, v13
	v_fmac_f32_e32 v32, 0xb2a5705f, v12
	v_sub_f32_e32 v13, v13, v33
	v_add_f32_e32 v13, v13, v32
	v_cvt_i32_f32_e32 v32, v33
	v_exp_f32_e32 v13, v13
	v_cmp_nlt_f32_e32 vcc, s16, v12
	v_ldexp_f32 v13, v13, v32
	v_cndmask_b32_e32 v13, 0, v13, vcc
	v_cmp_ngt_f32_e32 vcc, s17, v12
	v_cndmask_b32_e32 v12, v24, v13, vcc
	v_sub_f32_e32 v32, 1.0, v12
.LBB33_17:                              ;   in Loop: Header=BB33_3 Depth=1
	s_andn2_saveexec_b64 s[4:5], s[4:5]
; %bb.18:                               ;   in Loop: Header=BB33_3 Depth=1
	v_mul_f32_e32 v12, v31, v31
	v_mov_b32_e32 v13, 0x3ba10414
	v_fmac_f32_e32 v13, 0xba1345e1, v12
	v_fma_f32 v13, v12, v13, v19
	v_fma_f32 v13, v12, v13, v20
	;; [unrolled: 1-line block ×4, first 2 shown]
	v_fma_f32 v32, |v31|, v12, |v31|
; %bb.19:                               ;   in Loop: Header=BB33_3 Depth=1
	s_or_b64 exec, exec, s[4:5]
	v_cvt_f32_f16_e32 v12, v8
                                        ; implicit-def: $vgpr34
	v_mul_f32_e32 v33, 0x3f3504f3, v12
	v_cmp_nlt_f32_e64 s[4:5], |v33|, 1.0
	s_and_saveexec_b64 s[20:21], s[4:5]
	s_xor_b64 s[4:5], exec, s[20:21]
	s_cbranch_execz .LBB33_21
; %bb.20:                               ;   in Loop: Header=BB33_3 Depth=1
	v_fma_f32 v13, |v33|, s9, v23
	v_fma_f32 v13, |v33|, v13, s10
	;; [unrolled: 1-line block ×6, first 2 shown]
	v_fma_f32 v13, |v33|, v13, |v33|
	v_mul_f32_e32 v34, 0xbfb8aa3b, v13
	v_fma_f32 v35, v13, s15, -v34
	v_rndne_f32_e32 v36, v34
	v_fmac_f32_e32 v35, 0xb2a5705f, v13
	v_sub_f32_e32 v34, v34, v36
	v_add_f32_e32 v34, v34, v35
	v_cvt_i32_f32_e32 v35, v36
	v_exp_f32_e32 v34, v34
	v_cmp_nlt_f32_e32 vcc, s16, v13
	v_ldexp_f32 v34, v34, v35
	v_cndmask_b32_e32 v34, 0, v34, vcc
	v_cmp_ngt_f32_e32 vcc, s17, v13
	v_cndmask_b32_e32 v13, v24, v34, vcc
	v_sub_f32_e32 v34, 1.0, v13
.LBB33_21:                              ;   in Loop: Header=BB33_3 Depth=1
	s_andn2_saveexec_b64 s[4:5], s[4:5]
; %bb.22:                               ;   in Loop: Header=BB33_3 Depth=1
	v_mul_f32_e32 v13, v33, v33
	v_mov_b32_e32 v34, 0x3ba10414
	v_fmac_f32_e32 v34, 0xba1345e1, v13
	v_fma_f32 v34, v13, v34, v19
	v_fma_f32 v34, v13, v34, v20
	;; [unrolled: 1-line block ×4, first 2 shown]
	v_fma_f32 v34, |v33|, v13, |v33|
; %bb.23:                               ;   in Loop: Header=BB33_3 Depth=1
	s_or_b64 exec, exec, s[4:5]
	v_cvt_f32_f16_sdwa v13, v8 dst_sel:DWORD dst_unused:UNUSED_PAD src0_sel:WORD_1
                                        ; implicit-def: $vgpr36
	v_mul_f32_e32 v35, 0x3f3504f3, v13
	v_cmp_nlt_f32_e64 s[4:5], |v35|, 1.0
	s_and_saveexec_b64 s[20:21], s[4:5]
	s_xor_b64 s[4:5], exec, s[20:21]
	s_cbranch_execz .LBB33_25
; %bb.24:                               ;   in Loop: Header=BB33_3 Depth=1
	v_fma_f32 v8, |v35|, s9, v23
	v_fma_f32 v8, |v35|, v8, s10
	;; [unrolled: 1-line block ×6, first 2 shown]
	v_fma_f32 v8, |v35|, v8, |v35|
	v_mul_f32_e32 v36, 0xbfb8aa3b, v8
	v_fma_f32 v37, v8, s15, -v36
	v_rndne_f32_e32 v38, v36
	v_fmac_f32_e32 v37, 0xb2a5705f, v8
	v_sub_f32_e32 v36, v36, v38
	v_add_f32_e32 v36, v36, v37
	v_cvt_i32_f32_e32 v37, v38
	v_exp_f32_e32 v36, v36
	v_cmp_nlt_f32_e32 vcc, s16, v8
	v_ldexp_f32 v36, v36, v37
	v_cndmask_b32_e32 v36, 0, v36, vcc
	v_cmp_ngt_f32_e32 vcc, s17, v8
	v_cndmask_b32_e32 v8, v24, v36, vcc
	v_sub_f32_e32 v36, 1.0, v8
.LBB33_25:                              ;   in Loop: Header=BB33_3 Depth=1
	s_andn2_saveexec_b64 s[4:5], s[4:5]
; %bb.26:                               ;   in Loop: Header=BB33_3 Depth=1
	v_mul_f32_e32 v8, v35, v35
	v_mov_b32_e32 v36, 0x3ba10414
	v_fmac_f32_e32 v36, 0xba1345e1, v8
	v_fma_f32 v36, v8, v36, v19
	v_fma_f32 v36, v8, v36, v20
	;; [unrolled: 1-line block ×4, first 2 shown]
	v_fma_f32 v36, |v35|, v8, |v35|
; %bb.27:                               ;   in Loop: Header=BB33_3 Depth=1
	s_or_b64 exec, exec, s[4:5]
	v_cvt_f32_f16_e32 v8, v9
                                        ; implicit-def: $vgpr38
	v_mul_f32_e32 v37, 0x3f3504f3, v8
	v_cmp_nlt_f32_e64 s[4:5], |v37|, 1.0
	s_and_saveexec_b64 s[20:21], s[4:5]
	s_xor_b64 s[4:5], exec, s[20:21]
	s_cbranch_execz .LBB33_29
; %bb.28:                               ;   in Loop: Header=BB33_3 Depth=1
	v_fma_f32 v38, |v37|, s9, v23
	v_fma_f32 v38, |v37|, v38, s10
	;; [unrolled: 1-line block ×6, first 2 shown]
	v_fma_f32 v38, |v37|, v38, |v37|
	v_mul_f32_e32 v39, 0xbfb8aa3b, v38
	v_fma_f32 v40, v38, s15, -v39
	v_rndne_f32_e32 v41, v39
	v_fmac_f32_e32 v40, 0xb2a5705f, v38
	v_sub_f32_e32 v39, v39, v41
	v_add_f32_e32 v39, v39, v40
	v_cvt_i32_f32_e32 v40, v41
	v_exp_f32_e32 v39, v39
	v_cmp_nlt_f32_e32 vcc, s16, v38
	v_ldexp_f32 v39, v39, v40
	v_cndmask_b32_e32 v39, 0, v39, vcc
	v_cmp_ngt_f32_e32 vcc, s17, v38
	v_cndmask_b32_e32 v38, v24, v39, vcc
	v_sub_f32_e32 v38, 1.0, v38
.LBB33_29:                              ;   in Loop: Header=BB33_3 Depth=1
	s_andn2_saveexec_b64 s[4:5], s[4:5]
; %bb.30:                               ;   in Loop: Header=BB33_3 Depth=1
	v_mul_f32_e32 v38, v37, v37
	v_mov_b32_e32 v39, 0x3ba10414
	v_fmac_f32_e32 v39, 0xba1345e1, v38
	v_fma_f32 v39, v38, v39, v19
	v_fma_f32 v39, v38, v39, v20
	;; [unrolled: 1-line block ×4, first 2 shown]
	v_fma_f32 v38, |v37|, v38, |v37|
; %bb.31:                               ;   in Loop: Header=BB33_3 Depth=1
	s_or_b64 exec, exec, s[4:5]
	v_cvt_f32_f16_sdwa v9, v9 dst_sel:DWORD dst_unused:UNUSED_PAD src0_sel:WORD_1
                                        ; implicit-def: $vgpr40
	v_mul_f32_e32 v39, 0x3f3504f3, v9
	v_cmp_nlt_f32_e64 s[4:5], |v39|, 1.0
	s_and_saveexec_b64 s[20:21], s[4:5]
	s_xor_b64 s[4:5], exec, s[20:21]
	s_cbranch_execz .LBB33_33
; %bb.32:                               ;   in Loop: Header=BB33_3 Depth=1
	v_fma_f32 v40, |v39|, s9, v23
	v_fma_f32 v40, |v39|, v40, s10
	v_fma_f32 v40, |v39|, v40, s11
	v_fma_f32 v40, |v39|, v40, s12
	v_fma_f32 v40, |v39|, v40, s13
	v_fma_f32 v40, |v39|, v40, s14
	v_fma_f32 v40, |v39|, v40, |v39|
	v_mul_f32_e32 v41, 0xbfb8aa3b, v40
	v_fma_f32 v42, v40, s15, -v41
	v_rndne_f32_e32 v43, v41
	v_fmac_f32_e32 v42, 0xb2a5705f, v40
	v_sub_f32_e32 v41, v41, v43
	v_add_f32_e32 v41, v41, v42
	v_cvt_i32_f32_e32 v42, v43
	v_exp_f32_e32 v41, v41
	v_cmp_nlt_f32_e32 vcc, s16, v40
	v_ldexp_f32 v41, v41, v42
	v_cndmask_b32_e32 v41, 0, v41, vcc
	v_cmp_ngt_f32_e32 vcc, s17, v40
	v_cndmask_b32_e32 v40, v24, v41, vcc
	v_sub_f32_e32 v40, 1.0, v40
.LBB33_33:                              ;   in Loop: Header=BB33_3 Depth=1
	s_andn2_saveexec_b64 s[4:5], s[4:5]
	s_cbranch_execz .LBB33_2
; %bb.34:                               ;   in Loop: Header=BB33_3 Depth=1
	v_mul_f32_e32 v40, v39, v39
	v_mov_b32_e32 v41, 0x3ba10414
	v_fmac_f32_e32 v41, 0xba1345e1, v40
	v_fma_f32 v41, v40, v41, v19
	v_fma_f32 v41, v40, v41, v20
	;; [unrolled: 1-line block ×4, first 2 shown]
	v_fma_f32 v40, |v39|, v40, |v39|
	s_branch .LBB33_2
.LBB33_35:
	s_endpgm
	.section	.rodata,"a",@progbits
	.p2align	6, 0x0
	.amdhsa_kernel _ZN4vllm18act_and_mul_kernelIN3c104HalfE7__half2TnPFT_RKS4_EXadL_ZNS_11gelu_kernelIS2_EES4_S6_EETnPFT0_RKSA_EXadL_ZNS_18packed_gelu_kernelIS3_EES4_S6_EELb1ELb1ELb0ELb0EEEvPS4_PS5_if
		.amdhsa_group_segment_fixed_size 0
		.amdhsa_private_segment_fixed_size 0
		.amdhsa_kernarg_size 280
		.amdhsa_user_sgpr_count 6
		.amdhsa_user_sgpr_private_segment_buffer 1
		.amdhsa_user_sgpr_dispatch_ptr 0
		.amdhsa_user_sgpr_queue_ptr 0
		.amdhsa_user_sgpr_kernarg_segment_ptr 1
		.amdhsa_user_sgpr_dispatch_id 0
		.amdhsa_user_sgpr_flat_scratch_init 0
		.amdhsa_user_sgpr_kernarg_preload_length 0
		.amdhsa_user_sgpr_kernarg_preload_offset 0
		.amdhsa_user_sgpr_private_segment_size 0
		.amdhsa_uses_dynamic_stack 0
		.amdhsa_system_sgpr_private_segment_wavefront_offset 0
		.amdhsa_system_sgpr_workgroup_id_x 1
		.amdhsa_system_sgpr_workgroup_id_y 0
		.amdhsa_system_sgpr_workgroup_id_z 0
		.amdhsa_system_sgpr_workgroup_info 0
		.amdhsa_system_vgpr_workitem_id 0
		.amdhsa_next_free_vgpr 44
		.amdhsa_next_free_sgpr 22
		.amdhsa_accum_offset 44
		.amdhsa_reserve_vcc 1
		.amdhsa_reserve_flat_scratch 0
		.amdhsa_float_round_mode_32 0
		.amdhsa_float_round_mode_16_64 0
		.amdhsa_float_denorm_mode_32 3
		.amdhsa_float_denorm_mode_16_64 3
		.amdhsa_dx10_clamp 1
		.amdhsa_ieee_mode 1
		.amdhsa_fp16_overflow 0
		.amdhsa_tg_split 0
		.amdhsa_exception_fp_ieee_invalid_op 0
		.amdhsa_exception_fp_denorm_src 0
		.amdhsa_exception_fp_ieee_div_zero 0
		.amdhsa_exception_fp_ieee_overflow 0
		.amdhsa_exception_fp_ieee_underflow 0
		.amdhsa_exception_fp_ieee_inexact 0
		.amdhsa_exception_int_div_zero 0
	.end_amdhsa_kernel
	.section	.text._ZN4vllm18act_and_mul_kernelIN3c104HalfE7__half2TnPFT_RKS4_EXadL_ZNS_11gelu_kernelIS2_EES4_S6_EETnPFT0_RKSA_EXadL_ZNS_18packed_gelu_kernelIS3_EES4_S6_EELb1ELb1ELb0ELb0EEEvPS4_PS5_if,"axG",@progbits,_ZN4vllm18act_and_mul_kernelIN3c104HalfE7__half2TnPFT_RKS4_EXadL_ZNS_11gelu_kernelIS2_EES4_S6_EETnPFT0_RKSA_EXadL_ZNS_18packed_gelu_kernelIS3_EES4_S6_EELb1ELb1ELb0ELb0EEEvPS4_PS5_if,comdat
.Lfunc_end33:
	.size	_ZN4vllm18act_and_mul_kernelIN3c104HalfE7__half2TnPFT_RKS4_EXadL_ZNS_11gelu_kernelIS2_EES4_S6_EETnPFT0_RKSA_EXadL_ZNS_18packed_gelu_kernelIS3_EES4_S6_EELb1ELb1ELb0ELb0EEEvPS4_PS5_if, .Lfunc_end33-_ZN4vllm18act_and_mul_kernelIN3c104HalfE7__half2TnPFT_RKS4_EXadL_ZNS_11gelu_kernelIS2_EES4_S6_EETnPFT0_RKSA_EXadL_ZNS_18packed_gelu_kernelIS3_EES4_S6_EELb1ELb1ELb0ELb0EEEvPS4_PS5_if
                                        ; -- End function
	.section	.AMDGPU.csdata,"",@progbits
; Kernel info:
; codeLenInByte = 2492
; NumSgprs: 26
; NumVgprs: 44
; NumAgprs: 0
; TotalNumVgprs: 44
; ScratchSize: 0
; MemoryBound: 0
; FloatMode: 240
; IeeeMode: 1
; LDSByteSize: 0 bytes/workgroup (compile time only)
; SGPRBlocks: 3
; VGPRBlocks: 5
; NumSGPRsForWavesPerEU: 26
; NumVGPRsForWavesPerEU: 44
; AccumOffset: 44
; Occupancy: 8
; WaveLimiterHint : 0
; COMPUTE_PGM_RSRC2:SCRATCH_EN: 0
; COMPUTE_PGM_RSRC2:USER_SGPR: 6
; COMPUTE_PGM_RSRC2:TRAP_HANDLER: 0
; COMPUTE_PGM_RSRC2:TGID_X_EN: 1
; COMPUTE_PGM_RSRC2:TGID_Y_EN: 0
; COMPUTE_PGM_RSRC2:TGID_Z_EN: 0
; COMPUTE_PGM_RSRC2:TIDIG_COMP_CNT: 0
; COMPUTE_PGM_RSRC3_GFX90A:ACCUM_OFFSET: 10
; COMPUTE_PGM_RSRC3_GFX90A:TG_SPLIT: 0
	.section	.text._ZN4vllm18act_and_mul_kernelIN3c108BFloat16E15__hip_bfloat162TnPFT_RKS4_EXadL_ZNS_11gelu_kernelIS2_EES4_S6_EETnPFT0_RKSA_EXadL_ZNS_18packed_gelu_kernelIS3_EES4_S6_EELb1ELb1ELb0ELb0EEEvPS4_PS5_if,"axG",@progbits,_ZN4vllm18act_and_mul_kernelIN3c108BFloat16E15__hip_bfloat162TnPFT_RKS4_EXadL_ZNS_11gelu_kernelIS2_EES4_S6_EETnPFT0_RKSA_EXadL_ZNS_18packed_gelu_kernelIS3_EES4_S6_EELb1ELb1ELb0ELb0EEEvPS4_PS5_if,comdat
	.protected	_ZN4vllm18act_and_mul_kernelIN3c108BFloat16E15__hip_bfloat162TnPFT_RKS4_EXadL_ZNS_11gelu_kernelIS2_EES4_S6_EETnPFT0_RKSA_EXadL_ZNS_18packed_gelu_kernelIS3_EES4_S6_EELb1ELb1ELb0ELb0EEEvPS4_PS5_if ; -- Begin function _ZN4vllm18act_and_mul_kernelIN3c108BFloat16E15__hip_bfloat162TnPFT_RKS4_EXadL_ZNS_11gelu_kernelIS2_EES4_S6_EETnPFT0_RKSA_EXadL_ZNS_18packed_gelu_kernelIS3_EES4_S6_EELb1ELb1ELb0ELb0EEEvPS4_PS5_if
	.globl	_ZN4vllm18act_and_mul_kernelIN3c108BFloat16E15__hip_bfloat162TnPFT_RKS4_EXadL_ZNS_11gelu_kernelIS2_EES4_S6_EETnPFT0_RKSA_EXadL_ZNS_18packed_gelu_kernelIS3_EES4_S6_EELb1ELb1ELb0ELb0EEEvPS4_PS5_if
	.p2align	8
	.type	_ZN4vllm18act_and_mul_kernelIN3c108BFloat16E15__hip_bfloat162TnPFT_RKS4_EXadL_ZNS_11gelu_kernelIS2_EES4_S6_EETnPFT0_RKSA_EXadL_ZNS_18packed_gelu_kernelIS3_EES4_S6_EELb1ELb1ELb0ELb0EEEvPS4_PS5_if,@function
_ZN4vllm18act_and_mul_kernelIN3c108BFloat16E15__hip_bfloat162TnPFT_RKS4_EXadL_ZNS_11gelu_kernelIS2_EES4_S6_EETnPFT0_RKSA_EXadL_ZNS_18packed_gelu_kernelIS3_EES4_S6_EELb1ELb1ELb0ELb0EEEvPS4_PS5_if: ; @_ZN4vllm18act_and_mul_kernelIN3c108BFloat16E15__hip_bfloat162TnPFT_RKS4_EXadL_ZNS_11gelu_kernelIS2_EES4_S6_EETnPFT0_RKSA_EXadL_ZNS_18packed_gelu_kernelIS3_EES4_S6_EELb1ELb1ELb0ELb0EEEvPS4_PS5_if
; %bb.0:
	s_load_dword s0, s[4:5], 0x10
	s_waitcnt lgkmcnt(0)
	s_ashr_i32 s1, s0, 31
	s_lshr_b32 s2, s1, 29
	s_add_i32 s2, s0, s2
	s_ashr_i32 s7, s2, 3
	v_cmp_gt_i32_e32 vcc, s7, v0
	s_and_saveexec_b64 s[2:3], vcc
	s_cbranch_execz .LBB34_99
; %bb.1:
	s_load_dwordx4 s[12:15], s[4:5], 0x0
	s_load_dword s8, s[4:5], 0x24
	s_mul_i32 s2, s6, s0
	s_lshl_b32 s4, s2, 1
	s_mov_b32 s5, 0
	s_mov_b32 s3, s5
	s_waitcnt lgkmcnt(0)
	s_and_b32 s6, s8, 0xffff
	s_lshl_b64 s[4:5], s[4:5], 1
	s_add_u32 s4, s14, s4
	v_lshlrev_b32_e32 v2, 4, v0
	s_addc_u32 s5, s15, s5
	v_mov_b32_e32 v3, s5
	v_add_co_u32_e32 v1, vcc, s4, v2
	v_addc_co_u32_e32 v10, vcc, 0, v3, vcc
	s_lshl_b64 s[0:1], s[0:1], 1
	s_lshl_b32 s8, s6, 4
	v_mov_b32_e32 v3, s1
	v_add_co_u32_e32 v11, vcc, s0, v1
	s_lshl_b64 s[0:1], s[2:3], 1
	s_add_u32 s0, s12, s0
	v_addc_co_u32_e32 v12, vcc, v10, v3, vcc
	s_addc_u32 s1, s13, s1
	v_mov_b32_e32 v3, s1
	v_add_co_u32_e32 v13, vcc, s0, v2
	v_addc_co_u32_e32 v14, vcc, 0, v3, vcc
	s_mov_b64 s[0:1], 0
	s_mov_b32 s9, 0x378e98ab
	s_mov_b32 s10, 0x3b7cd369
	;; [unrolled: 1-line block ×10, first 2 shown]
	v_mov_b32_e32 v15, 0xbcdac9b8
	v_mov_b32_e32 v16, 0x3de703be
	;; [unrolled: 1-line block ×4, first 2 shown]
	s_brev_b32 s19, -2
	s_movk_i32 s20, 0x7fff
	s_mov_b32 s21, 0x7060302
	v_mov_b32_e32 v19, 0xb9c68948
	v_mov_b32_e32 v20, 0x7f800000
	;; [unrolled: 1-line block ×3, first 2 shown]
	s_mov_b64 s[2:3], 0
	s_branch .LBB34_3
.LBB34_2:                               ;   in Loop: Header=BB34_3 Depth=1
	s_or_b64 exec, exec, s[4:5]
	v_perm_b32 v3, v3, v7, s21
	v_perm_b32 v2, v2, v6, s21
	v_mov_b32_e32 v7, s3
	v_add_co_u32_e32 v6, vcc, s2, v13
	v_addc_co_u32_e32 v7, vcc, v14, v7, vcc
	v_add_u32_e32 v0, s6, v0
	s_add_u32 s2, s2, s8
	s_addc_u32 s3, s3, 0
	v_cmp_le_i32_e32 vcc, s7, v0
	v_perm_b32 v5, v9, v22, s21
	v_perm_b32 v4, v4, v8, s21
	s_or_b64 s[0:1], vcc, s[0:1]
	global_store_dwordx4 v[6:7], v[2:5], off
	s_andn2_b64 exec, exec, s[0:1]
	s_cbranch_execz .LBB34_99
.LBB34_3:                               ; =>This Inner Loop Header: Depth=1
	v_mov_b32_e32 v4, s3
	v_add_co_u32_e32 v2, vcc, s2, v1
	v_addc_co_u32_e32 v3, vcc, v10, v4, vcc
	global_load_dwordx4 v[6:9], v[2:3], off
	v_add_co_u32_e32 v2, vcc, s2, v11
	v_addc_co_u32_e32 v3, vcc, v12, v4, vcc
	global_load_dwordx4 v[2:5], v[2:3], off
                                        ; implicit-def: $vgpr25
	s_waitcnt vmcnt(1)
	v_lshlrev_b32_e32 v22, 16, v6
	v_mul_f32_e32 v23, 0x3f3504f3, v22
	v_cmp_nlt_f32_e64 s[4:5], |v23|, 1.0
	s_and_saveexec_b64 s[22:23], s[4:5]
	s_xor_b64 s[4:5], exec, s[22:23]
	s_cbranch_execz .LBB34_5
; %bb.4:                                ;   in Loop: Header=BB34_3 Depth=1
	v_fma_f32 v24, |v23|, s9, v19
	v_fma_f32 v24, |v23|, v24, s10
	;; [unrolled: 1-line block ×6, first 2 shown]
	v_fma_f32 v24, |v23|, v24, |v23|
	v_mul_f32_e32 v25, 0xbfb8aa3b, v24
	v_fma_f32 v26, v24, s15, -v25
	v_rndne_f32_e32 v27, v25
	v_fmac_f32_e32 v26, 0xb2a5705f, v24
	v_sub_f32_e32 v25, v25, v27
	v_add_f32_e32 v25, v25, v26
	v_cvt_i32_f32_e32 v26, v27
	v_exp_f32_e32 v25, v25
	v_cmp_nlt_f32_e32 vcc, s16, v24
	v_ldexp_f32 v25, v25, v26
	v_cndmask_b32_e32 v25, 0, v25, vcc
	v_cmp_ngt_f32_e32 vcc, s17, v24
	v_cndmask_b32_e32 v24, v20, v25, vcc
	v_sub_f32_e32 v25, 1.0, v24
.LBB34_5:                               ;   in Loop: Header=BB34_3 Depth=1
	s_andn2_saveexec_b64 s[4:5], s[4:5]
; %bb.6:                                ;   in Loop: Header=BB34_3 Depth=1
	v_mul_f32_e32 v24, v23, v23
	v_mov_b32_e32 v25, 0x3ba10414
	v_fmac_f32_e32 v25, 0xba1345e1, v24
	v_fma_f32 v25, v24, v25, v15
	v_fma_f32 v25, v24, v25, v16
	;; [unrolled: 1-line block ×4, first 2 shown]
	v_fma_f32 v25, |v23|, v24, |v23|
; %bb.7:                                ;   in Loop: Header=BB34_3 Depth=1
	s_or_b64 exec, exec, s[4:5]
	v_and_b32_e32 v6, 0xffff0000, v6
	v_mul_f32_e32 v24, 0x3f3504f3, v6
	v_cmp_nlt_f32_e64 s[4:5], |v24|, 1.0
                                        ; implicit-def: $vgpr26
	s_and_saveexec_b64 s[22:23], s[4:5]
	s_xor_b64 s[4:5], exec, s[22:23]
	s_cbranch_execz .LBB34_9
; %bb.8:                                ;   in Loop: Header=BB34_3 Depth=1
	v_fma_f32 v26, |v24|, s9, v19
	v_fma_f32 v26, |v24|, v26, s10
	;; [unrolled: 1-line block ×6, first 2 shown]
	v_fma_f32 v26, |v24|, v26, |v24|
	v_mul_f32_e32 v27, 0xbfb8aa3b, v26
	v_fma_f32 v28, v26, s15, -v27
	v_rndne_f32_e32 v29, v27
	v_fmac_f32_e32 v28, 0xb2a5705f, v26
	v_sub_f32_e32 v27, v27, v29
	v_add_f32_e32 v27, v27, v28
	v_cvt_i32_f32_e32 v28, v29
	v_exp_f32_e32 v27, v27
	v_cmp_nlt_f32_e32 vcc, s16, v26
	v_ldexp_f32 v27, v27, v28
	v_cndmask_b32_e32 v27, 0, v27, vcc
	v_cmp_ngt_f32_e32 vcc, s17, v26
	v_cndmask_b32_e32 v26, v20, v27, vcc
	v_sub_f32_e32 v26, 1.0, v26
.LBB34_9:                               ;   in Loop: Header=BB34_3 Depth=1
	s_andn2_saveexec_b64 s[4:5], s[4:5]
; %bb.10:                               ;   in Loop: Header=BB34_3 Depth=1
	v_mul_f32_e32 v26, v24, v24
	v_mov_b32_e32 v27, 0x3ba10414
	v_fmac_f32_e32 v27, 0xba1345e1, v26
	v_fma_f32 v27, v26, v27, v15
	v_fma_f32 v27, v26, v27, v16
	;; [unrolled: 1-line block ×4, first 2 shown]
	v_fma_f32 v26, |v24|, v26, |v24|
; %bb.11:                               ;   in Loop: Header=BB34_3 Depth=1
	s_or_b64 exec, exec, s[4:5]
	v_bfi_b32 v23, s19, v25, v23
	v_mul_f32_e32 v22, 0.5, v22
	v_add_f32_e32 v23, 1.0, v23
	v_mul_f32_e32 v23, v22, v23
	v_and_b32_e32 v22, 0x7f800000, v23
	v_cmp_ne_u32_e32 vcc, s18, v22
                                        ; implicit-def: $vgpr22
	s_and_saveexec_b64 s[4:5], vcc
	s_xor_b64 s[4:5], exec, s[4:5]
; %bb.12:                               ;   in Loop: Header=BB34_3 Depth=1
	v_bfe_u32 v22, v23, 16, 1
	v_add3_u32 v22, v23, v22, s20
                                        ; implicit-def: $vgpr23
; %bb.13:                               ;   in Loop: Header=BB34_3 Depth=1
	s_andn2_saveexec_b64 s[4:5], s[4:5]
; %bb.14:                               ;   in Loop: Header=BB34_3 Depth=1
	v_or_b32_e32 v22, 0x10000, v23
	v_cmp_eq_u32_sdwa vcc, v23, v21 src0_sel:WORD_0 src1_sel:DWORD
	v_cndmask_b32_e32 v22, v22, v23, vcc
; %bb.15:                               ;   in Loop: Header=BB34_3 Depth=1
	s_or_b64 exec, exec, s[4:5]
	v_bfi_b32 v23, s19, v26, v24
	v_mul_f32_e32 v6, 0.5, v6
	v_add_f32_e32 v23, 1.0, v23
	v_mul_f32_e32 v6, v6, v23
	v_and_b32_e32 v23, 0x7f800000, v6
	v_cmp_ne_u32_e32 vcc, s18, v23
                                        ; implicit-def: $vgpr23
	s_and_saveexec_b64 s[4:5], vcc
	s_xor_b64 s[4:5], exec, s[4:5]
; %bb.16:                               ;   in Loop: Header=BB34_3 Depth=1
	v_bfe_u32 v23, v6, 16, 1
	v_add3_u32 v23, v6, v23, s20
                                        ; implicit-def: $vgpr6
; %bb.17:                               ;   in Loop: Header=BB34_3 Depth=1
	s_andn2_saveexec_b64 s[4:5], s[4:5]
; %bb.18:                               ;   in Loop: Header=BB34_3 Depth=1
	v_or_b32_e32 v23, 0x10000, v6
	v_cmp_eq_u32_sdwa vcc, v6, v21 src0_sel:WORD_0 src1_sel:DWORD
	v_cndmask_b32_e32 v23, v23, v6, vcc
; %bb.19:                               ;   in Loop: Header=BB34_3 Depth=1
	s_or_b64 exec, exec, s[4:5]
	v_and_b32_e32 v6, 0xffff0000, v22
	s_waitcnt vmcnt(0)
	v_lshlrev_b32_e32 v22, 16, v2
	v_mul_f32_e32 v22, v22, v6
	v_and_b32_e32 v6, 0x7f800000, v22
	v_cmp_ne_u32_e32 vcc, s18, v6
                                        ; implicit-def: $vgpr6
	s_and_saveexec_b64 s[4:5], vcc
	s_xor_b64 s[4:5], exec, s[4:5]
; %bb.20:                               ;   in Loop: Header=BB34_3 Depth=1
	v_bfe_u32 v6, v22, 16, 1
	v_add3_u32 v6, v22, v6, s20
                                        ; implicit-def: $vgpr22
; %bb.21:                               ;   in Loop: Header=BB34_3 Depth=1
	s_andn2_saveexec_b64 s[4:5], s[4:5]
; %bb.22:                               ;   in Loop: Header=BB34_3 Depth=1
	v_or_b32_e32 v6, 0x10000, v22
	v_cmp_eq_u32_sdwa vcc, v22, v21 src0_sel:WORD_0 src1_sel:DWORD
	v_cndmask_b32_e32 v6, v6, v22, vcc
; %bb.23:                               ;   in Loop: Header=BB34_3 Depth=1
	s_or_b64 exec, exec, s[4:5]
	v_and_b32_e32 v22, 0xffff0000, v23
	v_and_b32_e32 v2, 0xffff0000, v2
	v_mul_f32_e32 v22, v2, v22
	v_and_b32_e32 v2, 0x7f800000, v22
	v_cmp_ne_u32_e32 vcc, s18, v2
                                        ; implicit-def: $vgpr2
	s_and_saveexec_b64 s[4:5], vcc
	s_xor_b64 s[4:5], exec, s[4:5]
; %bb.24:                               ;   in Loop: Header=BB34_3 Depth=1
	v_bfe_u32 v2, v22, 16, 1
	v_add3_u32 v2, v22, v2, s20
                                        ; implicit-def: $vgpr22
; %bb.25:                               ;   in Loop: Header=BB34_3 Depth=1
	s_andn2_saveexec_b64 s[4:5], s[4:5]
; %bb.26:                               ;   in Loop: Header=BB34_3 Depth=1
	v_or_b32_e32 v2, 0x10000, v22
	v_cmp_eq_u32_sdwa vcc, v22, v21 src0_sel:WORD_0 src1_sel:DWORD
	v_cndmask_b32_e32 v2, v2, v22, vcc
; %bb.27:                               ;   in Loop: Header=BB34_3 Depth=1
	s_or_b64 exec, exec, s[4:5]
	v_lshlrev_b32_e32 v22, 16, v7
	v_mul_f32_e32 v23, 0x3f3504f3, v22
	v_cmp_nlt_f32_e64 s[4:5], |v23|, 1.0
                                        ; implicit-def: $vgpr25
	s_and_saveexec_b64 s[22:23], s[4:5]
	s_xor_b64 s[4:5], exec, s[22:23]
	s_cbranch_execz .LBB34_29
; %bb.28:                               ;   in Loop: Header=BB34_3 Depth=1
	v_fma_f32 v24, |v23|, s9, v19
	v_fma_f32 v24, |v23|, v24, s10
	;; [unrolled: 1-line block ×6, first 2 shown]
	v_fma_f32 v24, |v23|, v24, |v23|
	v_mul_f32_e32 v25, 0xbfb8aa3b, v24
	v_fma_f32 v26, v24, s15, -v25
	v_rndne_f32_e32 v27, v25
	v_fmac_f32_e32 v26, 0xb2a5705f, v24
	v_sub_f32_e32 v25, v25, v27
	v_add_f32_e32 v25, v25, v26
	v_cvt_i32_f32_e32 v26, v27
	v_exp_f32_e32 v25, v25
	v_cmp_nlt_f32_e32 vcc, s16, v24
	v_ldexp_f32 v25, v25, v26
	v_cndmask_b32_e32 v25, 0, v25, vcc
	v_cmp_ngt_f32_e32 vcc, s17, v24
	v_cndmask_b32_e32 v24, v20, v25, vcc
	v_sub_f32_e32 v25, 1.0, v24
.LBB34_29:                              ;   in Loop: Header=BB34_3 Depth=1
	s_andn2_saveexec_b64 s[4:5], s[4:5]
; %bb.30:                               ;   in Loop: Header=BB34_3 Depth=1
	v_mul_f32_e32 v24, v23, v23
	v_mov_b32_e32 v25, 0x3ba10414
	v_fmac_f32_e32 v25, 0xba1345e1, v24
	v_fma_f32 v25, v24, v25, v15
	v_fma_f32 v25, v24, v25, v16
	;; [unrolled: 1-line block ×4, first 2 shown]
	v_fma_f32 v25, |v23|, v24, |v23|
; %bb.31:                               ;   in Loop: Header=BB34_3 Depth=1
	s_or_b64 exec, exec, s[4:5]
	v_and_b32_e32 v7, 0xffff0000, v7
	v_mul_f32_e32 v24, 0x3f3504f3, v7
	v_cmp_nlt_f32_e64 s[4:5], |v24|, 1.0
                                        ; implicit-def: $vgpr26
	s_and_saveexec_b64 s[22:23], s[4:5]
	s_xor_b64 s[4:5], exec, s[22:23]
	s_cbranch_execz .LBB34_33
; %bb.32:                               ;   in Loop: Header=BB34_3 Depth=1
	v_fma_f32 v26, |v24|, s9, v19
	v_fma_f32 v26, |v24|, v26, s10
	;; [unrolled: 1-line block ×6, first 2 shown]
	v_fma_f32 v26, |v24|, v26, |v24|
	v_mul_f32_e32 v27, 0xbfb8aa3b, v26
	v_fma_f32 v28, v26, s15, -v27
	v_rndne_f32_e32 v29, v27
	v_fmac_f32_e32 v28, 0xb2a5705f, v26
	v_sub_f32_e32 v27, v27, v29
	v_add_f32_e32 v27, v27, v28
	v_cvt_i32_f32_e32 v28, v29
	v_exp_f32_e32 v27, v27
	v_cmp_nlt_f32_e32 vcc, s16, v26
	v_ldexp_f32 v27, v27, v28
	v_cndmask_b32_e32 v27, 0, v27, vcc
	v_cmp_ngt_f32_e32 vcc, s17, v26
	v_cndmask_b32_e32 v26, v20, v27, vcc
	v_sub_f32_e32 v26, 1.0, v26
.LBB34_33:                              ;   in Loop: Header=BB34_3 Depth=1
	s_andn2_saveexec_b64 s[4:5], s[4:5]
; %bb.34:                               ;   in Loop: Header=BB34_3 Depth=1
	v_mul_f32_e32 v26, v24, v24
	v_mov_b32_e32 v27, 0x3ba10414
	v_fmac_f32_e32 v27, 0xba1345e1, v26
	v_fma_f32 v27, v26, v27, v15
	v_fma_f32 v27, v26, v27, v16
	;; [unrolled: 1-line block ×4, first 2 shown]
	v_fma_f32 v26, |v24|, v26, |v24|
; %bb.35:                               ;   in Loop: Header=BB34_3 Depth=1
	s_or_b64 exec, exec, s[4:5]
	v_bfi_b32 v23, s19, v25, v23
	v_mul_f32_e32 v22, 0.5, v22
	v_add_f32_e32 v23, 1.0, v23
	v_mul_f32_e32 v23, v22, v23
	v_and_b32_e32 v22, 0x7f800000, v23
	v_cmp_ne_u32_e32 vcc, s18, v22
                                        ; implicit-def: $vgpr22
	s_and_saveexec_b64 s[4:5], vcc
	s_xor_b64 s[4:5], exec, s[4:5]
; %bb.36:                               ;   in Loop: Header=BB34_3 Depth=1
	v_bfe_u32 v22, v23, 16, 1
	v_add3_u32 v22, v23, v22, s20
                                        ; implicit-def: $vgpr23
; %bb.37:                               ;   in Loop: Header=BB34_3 Depth=1
	s_andn2_saveexec_b64 s[4:5], s[4:5]
; %bb.38:                               ;   in Loop: Header=BB34_3 Depth=1
	v_or_b32_e32 v22, 0x10000, v23
	v_cmp_eq_u32_sdwa vcc, v23, v21 src0_sel:WORD_0 src1_sel:DWORD
	v_cndmask_b32_e32 v22, v22, v23, vcc
; %bb.39:                               ;   in Loop: Header=BB34_3 Depth=1
	s_or_b64 exec, exec, s[4:5]
	v_bfi_b32 v23, s19, v26, v24
	v_mul_f32_e32 v7, 0.5, v7
	v_add_f32_e32 v23, 1.0, v23
	v_mul_f32_e32 v7, v7, v23
	v_and_b32_e32 v23, 0x7f800000, v7
	v_cmp_ne_u32_e32 vcc, s18, v23
                                        ; implicit-def: $vgpr23
	s_and_saveexec_b64 s[4:5], vcc
	s_xor_b64 s[4:5], exec, s[4:5]
; %bb.40:                               ;   in Loop: Header=BB34_3 Depth=1
	v_bfe_u32 v23, v7, 16, 1
	v_add3_u32 v23, v7, v23, s20
                                        ; implicit-def: $vgpr7
; %bb.41:                               ;   in Loop: Header=BB34_3 Depth=1
	s_andn2_saveexec_b64 s[4:5], s[4:5]
; %bb.42:                               ;   in Loop: Header=BB34_3 Depth=1
	v_or_b32_e32 v23, 0x10000, v7
	v_cmp_eq_u32_sdwa vcc, v7, v21 src0_sel:WORD_0 src1_sel:DWORD
	v_cndmask_b32_e32 v23, v23, v7, vcc
; %bb.43:                               ;   in Loop: Header=BB34_3 Depth=1
	s_or_b64 exec, exec, s[4:5]
	v_and_b32_e32 v7, 0xffff0000, v22
	v_lshlrev_b32_e32 v22, 16, v3
	v_mul_f32_e32 v22, v22, v7
	v_and_b32_e32 v7, 0x7f800000, v22
	v_cmp_ne_u32_e32 vcc, s18, v7
                                        ; implicit-def: $vgpr7
	s_and_saveexec_b64 s[4:5], vcc
	s_xor_b64 s[4:5], exec, s[4:5]
; %bb.44:                               ;   in Loop: Header=BB34_3 Depth=1
	v_bfe_u32 v7, v22, 16, 1
	v_add3_u32 v7, v22, v7, s20
                                        ; implicit-def: $vgpr22
; %bb.45:                               ;   in Loop: Header=BB34_3 Depth=1
	s_andn2_saveexec_b64 s[4:5], s[4:5]
; %bb.46:                               ;   in Loop: Header=BB34_3 Depth=1
	v_or_b32_e32 v7, 0x10000, v22
	v_cmp_eq_u32_sdwa vcc, v22, v21 src0_sel:WORD_0 src1_sel:DWORD
	v_cndmask_b32_e32 v7, v7, v22, vcc
; %bb.47:                               ;   in Loop: Header=BB34_3 Depth=1
	s_or_b64 exec, exec, s[4:5]
	v_and_b32_e32 v22, 0xffff0000, v23
	v_and_b32_e32 v3, 0xffff0000, v3
	v_mul_f32_e32 v22, v3, v22
	v_and_b32_e32 v3, 0x7f800000, v22
	v_cmp_ne_u32_e32 vcc, s18, v3
                                        ; implicit-def: $vgpr3
	s_and_saveexec_b64 s[4:5], vcc
	s_xor_b64 s[4:5], exec, s[4:5]
; %bb.48:                               ;   in Loop: Header=BB34_3 Depth=1
	v_bfe_u32 v3, v22, 16, 1
	v_add3_u32 v3, v22, v3, s20
                                        ; implicit-def: $vgpr22
; %bb.49:                               ;   in Loop: Header=BB34_3 Depth=1
	s_andn2_saveexec_b64 s[4:5], s[4:5]
; %bb.50:                               ;   in Loop: Header=BB34_3 Depth=1
	v_or_b32_e32 v3, 0x10000, v22
	v_cmp_eq_u32_sdwa vcc, v22, v21 src0_sel:WORD_0 src1_sel:DWORD
	v_cndmask_b32_e32 v3, v3, v22, vcc
; %bb.51:                               ;   in Loop: Header=BB34_3 Depth=1
	s_or_b64 exec, exec, s[4:5]
	v_lshlrev_b32_e32 v22, 16, v8
	v_mul_f32_e32 v23, 0x3f3504f3, v22
	v_cmp_nlt_f32_e64 s[4:5], |v23|, 1.0
                                        ; implicit-def: $vgpr25
	s_and_saveexec_b64 s[22:23], s[4:5]
	s_xor_b64 s[4:5], exec, s[22:23]
	s_cbranch_execz .LBB34_53
; %bb.52:                               ;   in Loop: Header=BB34_3 Depth=1
	v_fma_f32 v24, |v23|, s9, v19
	v_fma_f32 v24, |v23|, v24, s10
	;; [unrolled: 1-line block ×6, first 2 shown]
	v_fma_f32 v24, |v23|, v24, |v23|
	v_mul_f32_e32 v25, 0xbfb8aa3b, v24
	v_fma_f32 v26, v24, s15, -v25
	v_rndne_f32_e32 v27, v25
	v_fmac_f32_e32 v26, 0xb2a5705f, v24
	v_sub_f32_e32 v25, v25, v27
	v_add_f32_e32 v25, v25, v26
	v_cvt_i32_f32_e32 v26, v27
	v_exp_f32_e32 v25, v25
	v_cmp_nlt_f32_e32 vcc, s16, v24
	v_ldexp_f32 v25, v25, v26
	v_cndmask_b32_e32 v25, 0, v25, vcc
	v_cmp_ngt_f32_e32 vcc, s17, v24
	v_cndmask_b32_e32 v24, v20, v25, vcc
	v_sub_f32_e32 v25, 1.0, v24
.LBB34_53:                              ;   in Loop: Header=BB34_3 Depth=1
	s_andn2_saveexec_b64 s[4:5], s[4:5]
; %bb.54:                               ;   in Loop: Header=BB34_3 Depth=1
	v_mul_f32_e32 v24, v23, v23
	v_mov_b32_e32 v25, 0x3ba10414
	v_fmac_f32_e32 v25, 0xba1345e1, v24
	v_fma_f32 v25, v24, v25, v15
	v_fma_f32 v25, v24, v25, v16
	;; [unrolled: 1-line block ×4, first 2 shown]
	v_fma_f32 v25, |v23|, v24, |v23|
; %bb.55:                               ;   in Loop: Header=BB34_3 Depth=1
	s_or_b64 exec, exec, s[4:5]
	v_and_b32_e32 v8, 0xffff0000, v8
	v_mul_f32_e32 v24, 0x3f3504f3, v8
	v_cmp_nlt_f32_e64 s[4:5], |v24|, 1.0
                                        ; implicit-def: $vgpr26
	s_and_saveexec_b64 s[22:23], s[4:5]
	s_xor_b64 s[4:5], exec, s[22:23]
	s_cbranch_execz .LBB34_57
; %bb.56:                               ;   in Loop: Header=BB34_3 Depth=1
	v_fma_f32 v26, |v24|, s9, v19
	v_fma_f32 v26, |v24|, v26, s10
	;; [unrolled: 1-line block ×6, first 2 shown]
	v_fma_f32 v26, |v24|, v26, |v24|
	v_mul_f32_e32 v27, 0xbfb8aa3b, v26
	v_fma_f32 v28, v26, s15, -v27
	v_rndne_f32_e32 v29, v27
	v_fmac_f32_e32 v28, 0xb2a5705f, v26
	v_sub_f32_e32 v27, v27, v29
	v_add_f32_e32 v27, v27, v28
	v_cvt_i32_f32_e32 v28, v29
	v_exp_f32_e32 v27, v27
	v_cmp_nlt_f32_e32 vcc, s16, v26
	v_ldexp_f32 v27, v27, v28
	v_cndmask_b32_e32 v27, 0, v27, vcc
	v_cmp_ngt_f32_e32 vcc, s17, v26
	v_cndmask_b32_e32 v26, v20, v27, vcc
	v_sub_f32_e32 v26, 1.0, v26
.LBB34_57:                              ;   in Loop: Header=BB34_3 Depth=1
	s_andn2_saveexec_b64 s[4:5], s[4:5]
; %bb.58:                               ;   in Loop: Header=BB34_3 Depth=1
	v_mul_f32_e32 v26, v24, v24
	v_mov_b32_e32 v27, 0x3ba10414
	v_fmac_f32_e32 v27, 0xba1345e1, v26
	v_fma_f32 v27, v26, v27, v15
	v_fma_f32 v27, v26, v27, v16
	;; [unrolled: 1-line block ×4, first 2 shown]
	v_fma_f32 v26, |v24|, v26, |v24|
; %bb.59:                               ;   in Loop: Header=BB34_3 Depth=1
	s_or_b64 exec, exec, s[4:5]
	v_bfi_b32 v23, s19, v25, v23
	v_mul_f32_e32 v22, 0.5, v22
	v_add_f32_e32 v23, 1.0, v23
	v_mul_f32_e32 v23, v22, v23
	v_and_b32_e32 v22, 0x7f800000, v23
	v_cmp_ne_u32_e32 vcc, s18, v22
                                        ; implicit-def: $vgpr22
	s_and_saveexec_b64 s[4:5], vcc
	s_xor_b64 s[4:5], exec, s[4:5]
; %bb.60:                               ;   in Loop: Header=BB34_3 Depth=1
	v_bfe_u32 v22, v23, 16, 1
	v_add3_u32 v22, v23, v22, s20
                                        ; implicit-def: $vgpr23
; %bb.61:                               ;   in Loop: Header=BB34_3 Depth=1
	s_andn2_saveexec_b64 s[4:5], s[4:5]
; %bb.62:                               ;   in Loop: Header=BB34_3 Depth=1
	v_or_b32_e32 v22, 0x10000, v23
	v_cmp_eq_u32_sdwa vcc, v23, v21 src0_sel:WORD_0 src1_sel:DWORD
	v_cndmask_b32_e32 v22, v22, v23, vcc
; %bb.63:                               ;   in Loop: Header=BB34_3 Depth=1
	s_or_b64 exec, exec, s[4:5]
	v_bfi_b32 v23, s19, v26, v24
	v_mul_f32_e32 v8, 0.5, v8
	v_add_f32_e32 v23, 1.0, v23
	v_mul_f32_e32 v8, v8, v23
	v_and_b32_e32 v23, 0x7f800000, v8
	v_cmp_ne_u32_e32 vcc, s18, v23
                                        ; implicit-def: $vgpr23
	s_and_saveexec_b64 s[4:5], vcc
	s_xor_b64 s[4:5], exec, s[4:5]
; %bb.64:                               ;   in Loop: Header=BB34_3 Depth=1
	v_bfe_u32 v23, v8, 16, 1
	v_add3_u32 v23, v8, v23, s20
                                        ; implicit-def: $vgpr8
; %bb.65:                               ;   in Loop: Header=BB34_3 Depth=1
	s_andn2_saveexec_b64 s[4:5], s[4:5]
; %bb.66:                               ;   in Loop: Header=BB34_3 Depth=1
	v_or_b32_e32 v23, 0x10000, v8
	v_cmp_eq_u32_sdwa vcc, v8, v21 src0_sel:WORD_0 src1_sel:DWORD
	v_cndmask_b32_e32 v23, v23, v8, vcc
; %bb.67:                               ;   in Loop: Header=BB34_3 Depth=1
	s_or_b64 exec, exec, s[4:5]
	v_and_b32_e32 v8, 0xffff0000, v22
	v_lshlrev_b32_e32 v22, 16, v4
	v_mul_f32_e32 v22, v22, v8
	v_and_b32_e32 v8, 0x7f800000, v22
	v_cmp_ne_u32_e32 vcc, s18, v8
                                        ; implicit-def: $vgpr8
	s_and_saveexec_b64 s[4:5], vcc
	s_xor_b64 s[4:5], exec, s[4:5]
; %bb.68:                               ;   in Loop: Header=BB34_3 Depth=1
	v_bfe_u32 v8, v22, 16, 1
	v_add3_u32 v8, v22, v8, s20
                                        ; implicit-def: $vgpr22
; %bb.69:                               ;   in Loop: Header=BB34_3 Depth=1
	s_andn2_saveexec_b64 s[4:5], s[4:5]
; %bb.70:                               ;   in Loop: Header=BB34_3 Depth=1
	v_or_b32_e32 v8, 0x10000, v22
	v_cmp_eq_u32_sdwa vcc, v22, v21 src0_sel:WORD_0 src1_sel:DWORD
	v_cndmask_b32_e32 v8, v8, v22, vcc
; %bb.71:                               ;   in Loop: Header=BB34_3 Depth=1
	s_or_b64 exec, exec, s[4:5]
	v_and_b32_e32 v22, 0xffff0000, v23
	v_and_b32_e32 v4, 0xffff0000, v4
	v_mul_f32_e32 v22, v4, v22
	v_and_b32_e32 v4, 0x7f800000, v22
	v_cmp_ne_u32_e32 vcc, s18, v4
                                        ; implicit-def: $vgpr4
	s_and_saveexec_b64 s[4:5], vcc
	s_xor_b64 s[4:5], exec, s[4:5]
; %bb.72:                               ;   in Loop: Header=BB34_3 Depth=1
	v_bfe_u32 v4, v22, 16, 1
	v_add3_u32 v4, v22, v4, s20
                                        ; implicit-def: $vgpr22
; %bb.73:                               ;   in Loop: Header=BB34_3 Depth=1
	s_andn2_saveexec_b64 s[4:5], s[4:5]
; %bb.74:                               ;   in Loop: Header=BB34_3 Depth=1
	v_or_b32_e32 v4, 0x10000, v22
	v_cmp_eq_u32_sdwa vcc, v22, v21 src0_sel:WORD_0 src1_sel:DWORD
	v_cndmask_b32_e32 v4, v4, v22, vcc
; %bb.75:                               ;   in Loop: Header=BB34_3 Depth=1
	s_or_b64 exec, exec, s[4:5]
	v_lshlrev_b32_e32 v22, 16, v9
	v_mul_f32_e32 v23, 0x3f3504f3, v22
	v_cmp_nlt_f32_e64 s[4:5], |v23|, 1.0
                                        ; implicit-def: $vgpr25
	s_and_saveexec_b64 s[22:23], s[4:5]
	s_xor_b64 s[4:5], exec, s[22:23]
	s_cbranch_execz .LBB34_77
; %bb.76:                               ;   in Loop: Header=BB34_3 Depth=1
	v_fma_f32 v24, |v23|, s9, v19
	v_fma_f32 v24, |v23|, v24, s10
	v_fma_f32 v24, |v23|, v24, s11
	v_fma_f32 v24, |v23|, v24, s12
	v_fma_f32 v24, |v23|, v24, s13
	v_fma_f32 v24, |v23|, v24, s14
	v_fma_f32 v24, |v23|, v24, |v23|
	v_mul_f32_e32 v25, 0xbfb8aa3b, v24
	v_fma_f32 v26, v24, s15, -v25
	v_rndne_f32_e32 v27, v25
	v_fmac_f32_e32 v26, 0xb2a5705f, v24
	v_sub_f32_e32 v25, v25, v27
	v_add_f32_e32 v25, v25, v26
	v_cvt_i32_f32_e32 v26, v27
	v_exp_f32_e32 v25, v25
	v_cmp_nlt_f32_e32 vcc, s16, v24
	v_ldexp_f32 v25, v25, v26
	v_cndmask_b32_e32 v25, 0, v25, vcc
	v_cmp_ngt_f32_e32 vcc, s17, v24
	v_cndmask_b32_e32 v24, v20, v25, vcc
	v_sub_f32_e32 v25, 1.0, v24
.LBB34_77:                              ;   in Loop: Header=BB34_3 Depth=1
	s_andn2_saveexec_b64 s[4:5], s[4:5]
; %bb.78:                               ;   in Loop: Header=BB34_3 Depth=1
	v_mul_f32_e32 v24, v23, v23
	v_mov_b32_e32 v25, 0x3ba10414
	v_fmac_f32_e32 v25, 0xba1345e1, v24
	v_fma_f32 v25, v24, v25, v15
	v_fma_f32 v25, v24, v25, v16
	;; [unrolled: 1-line block ×4, first 2 shown]
	v_fma_f32 v25, |v23|, v24, |v23|
; %bb.79:                               ;   in Loop: Header=BB34_3 Depth=1
	s_or_b64 exec, exec, s[4:5]
	v_and_b32_e32 v9, 0xffff0000, v9
	v_mul_f32_e32 v24, 0x3f3504f3, v9
	v_cmp_nlt_f32_e64 s[4:5], |v24|, 1.0
                                        ; implicit-def: $vgpr26
	s_and_saveexec_b64 s[22:23], s[4:5]
	s_xor_b64 s[4:5], exec, s[22:23]
	s_cbranch_execz .LBB34_81
; %bb.80:                               ;   in Loop: Header=BB34_3 Depth=1
	v_fma_f32 v26, |v24|, s9, v19
	v_fma_f32 v26, |v24|, v26, s10
	;; [unrolled: 1-line block ×6, first 2 shown]
	v_fma_f32 v26, |v24|, v26, |v24|
	v_mul_f32_e32 v27, 0xbfb8aa3b, v26
	v_fma_f32 v28, v26, s15, -v27
	v_rndne_f32_e32 v29, v27
	v_fmac_f32_e32 v28, 0xb2a5705f, v26
	v_sub_f32_e32 v27, v27, v29
	v_add_f32_e32 v27, v27, v28
	v_cvt_i32_f32_e32 v28, v29
	v_exp_f32_e32 v27, v27
	v_cmp_nlt_f32_e32 vcc, s16, v26
	v_ldexp_f32 v27, v27, v28
	v_cndmask_b32_e32 v27, 0, v27, vcc
	v_cmp_ngt_f32_e32 vcc, s17, v26
	v_cndmask_b32_e32 v26, v20, v27, vcc
	v_sub_f32_e32 v26, 1.0, v26
.LBB34_81:                              ;   in Loop: Header=BB34_3 Depth=1
	s_andn2_saveexec_b64 s[4:5], s[4:5]
; %bb.82:                               ;   in Loop: Header=BB34_3 Depth=1
	v_mul_f32_e32 v26, v24, v24
	v_mov_b32_e32 v27, 0x3ba10414
	v_fmac_f32_e32 v27, 0xba1345e1, v26
	v_fma_f32 v27, v26, v27, v15
	v_fma_f32 v27, v26, v27, v16
	;; [unrolled: 1-line block ×4, first 2 shown]
	v_fma_f32 v26, |v24|, v26, |v24|
; %bb.83:                               ;   in Loop: Header=BB34_3 Depth=1
	s_or_b64 exec, exec, s[4:5]
	v_bfi_b32 v23, s19, v25, v23
	v_mul_f32_e32 v22, 0.5, v22
	v_add_f32_e32 v23, 1.0, v23
	v_mul_f32_e32 v23, v22, v23
	v_and_b32_e32 v22, 0x7f800000, v23
	v_cmp_ne_u32_e32 vcc, s18, v22
                                        ; implicit-def: $vgpr22
	s_and_saveexec_b64 s[4:5], vcc
	s_xor_b64 s[4:5], exec, s[4:5]
; %bb.84:                               ;   in Loop: Header=BB34_3 Depth=1
	v_bfe_u32 v22, v23, 16, 1
	v_add3_u32 v22, v23, v22, s20
                                        ; implicit-def: $vgpr23
; %bb.85:                               ;   in Loop: Header=BB34_3 Depth=1
	s_andn2_saveexec_b64 s[4:5], s[4:5]
; %bb.86:                               ;   in Loop: Header=BB34_3 Depth=1
	v_or_b32_e32 v22, 0x10000, v23
	v_cmp_eq_u32_sdwa vcc, v23, v21 src0_sel:WORD_0 src1_sel:DWORD
	v_cndmask_b32_e32 v22, v22, v23, vcc
; %bb.87:                               ;   in Loop: Header=BB34_3 Depth=1
	s_or_b64 exec, exec, s[4:5]
	v_bfi_b32 v23, s19, v26, v24
	v_mul_f32_e32 v9, 0.5, v9
	v_add_f32_e32 v23, 1.0, v23
	v_mul_f32_e32 v23, v9, v23
	v_and_b32_e32 v9, 0x7f800000, v23
	v_cmp_ne_u32_e32 vcc, s18, v9
                                        ; implicit-def: $vgpr9
	s_and_saveexec_b64 s[4:5], vcc
	s_xor_b64 s[4:5], exec, s[4:5]
; %bb.88:                               ;   in Loop: Header=BB34_3 Depth=1
	v_bfe_u32 v9, v23, 16, 1
	v_add3_u32 v9, v23, v9, s20
                                        ; implicit-def: $vgpr23
; %bb.89:                               ;   in Loop: Header=BB34_3 Depth=1
	s_andn2_saveexec_b64 s[4:5], s[4:5]
; %bb.90:                               ;   in Loop: Header=BB34_3 Depth=1
	v_or_b32_e32 v9, 0x10000, v23
	v_cmp_eq_u32_sdwa vcc, v23, v21 src0_sel:WORD_0 src1_sel:DWORD
	v_cndmask_b32_e32 v9, v9, v23, vcc
; %bb.91:                               ;   in Loop: Header=BB34_3 Depth=1
	s_or_b64 exec, exec, s[4:5]
	v_and_b32_e32 v22, 0xffff0000, v22
	v_lshlrev_b32_e32 v23, 16, v5
	v_mul_f32_e32 v23, v23, v22
	v_and_b32_e32 v22, 0x7f800000, v23
	v_cmp_ne_u32_e32 vcc, s18, v22
                                        ; implicit-def: $vgpr22
	s_and_saveexec_b64 s[4:5], vcc
	s_xor_b64 s[4:5], exec, s[4:5]
; %bb.92:                               ;   in Loop: Header=BB34_3 Depth=1
	v_bfe_u32 v22, v23, 16, 1
	v_add3_u32 v22, v23, v22, s20
                                        ; implicit-def: $vgpr23
; %bb.93:                               ;   in Loop: Header=BB34_3 Depth=1
	s_andn2_saveexec_b64 s[4:5], s[4:5]
; %bb.94:                               ;   in Loop: Header=BB34_3 Depth=1
	v_or_b32_e32 v22, 0x10000, v23
	v_cmp_eq_u32_sdwa vcc, v23, v21 src0_sel:WORD_0 src1_sel:DWORD
	v_cndmask_b32_e32 v22, v22, v23, vcc
; %bb.95:                               ;   in Loop: Header=BB34_3 Depth=1
	s_or_b64 exec, exec, s[4:5]
	v_and_b32_e32 v9, 0xffff0000, v9
	v_and_b32_e32 v5, 0xffff0000, v5
	v_mul_f32_e32 v5, v5, v9
	v_and_b32_e32 v9, 0x7f800000, v5
	v_cmp_ne_u32_e32 vcc, s18, v9
                                        ; implicit-def: $vgpr9
	s_and_saveexec_b64 s[4:5], vcc
	s_xor_b64 s[4:5], exec, s[4:5]
; %bb.96:                               ;   in Loop: Header=BB34_3 Depth=1
	v_bfe_u32 v9, v5, 16, 1
	v_add3_u32 v9, v5, v9, s20
                                        ; implicit-def: $vgpr5
; %bb.97:                               ;   in Loop: Header=BB34_3 Depth=1
	s_andn2_saveexec_b64 s[4:5], s[4:5]
	s_cbranch_execz .LBB34_2
; %bb.98:                               ;   in Loop: Header=BB34_3 Depth=1
	v_or_b32_e32 v9, 0x10000, v5
	v_cmp_eq_u32_sdwa vcc, v5, v21 src0_sel:WORD_0 src1_sel:DWORD
	v_cndmask_b32_e32 v9, v9, v5, vcc
	s_branch .LBB34_2
.LBB34_99:
	s_endpgm
	.section	.rodata,"a",@progbits
	.p2align	6, 0x0
	.amdhsa_kernel _ZN4vllm18act_and_mul_kernelIN3c108BFloat16E15__hip_bfloat162TnPFT_RKS4_EXadL_ZNS_11gelu_kernelIS2_EES4_S6_EETnPFT0_RKSA_EXadL_ZNS_18packed_gelu_kernelIS3_EES4_S6_EELb1ELb1ELb0ELb0EEEvPS4_PS5_if
		.amdhsa_group_segment_fixed_size 0
		.amdhsa_private_segment_fixed_size 0
		.amdhsa_kernarg_size 280
		.amdhsa_user_sgpr_count 6
		.amdhsa_user_sgpr_private_segment_buffer 1
		.amdhsa_user_sgpr_dispatch_ptr 0
		.amdhsa_user_sgpr_queue_ptr 0
		.amdhsa_user_sgpr_kernarg_segment_ptr 1
		.amdhsa_user_sgpr_dispatch_id 0
		.amdhsa_user_sgpr_flat_scratch_init 0
		.amdhsa_user_sgpr_kernarg_preload_length 0
		.amdhsa_user_sgpr_kernarg_preload_offset 0
		.amdhsa_user_sgpr_private_segment_size 0
		.amdhsa_uses_dynamic_stack 0
		.amdhsa_system_sgpr_private_segment_wavefront_offset 0
		.amdhsa_system_sgpr_workgroup_id_x 1
		.amdhsa_system_sgpr_workgroup_id_y 0
		.amdhsa_system_sgpr_workgroup_id_z 0
		.amdhsa_system_sgpr_workgroup_info 0
		.amdhsa_system_vgpr_workitem_id 0
		.amdhsa_next_free_vgpr 30
		.amdhsa_next_free_sgpr 24
		.amdhsa_accum_offset 32
		.amdhsa_reserve_vcc 1
		.amdhsa_reserve_flat_scratch 0
		.amdhsa_float_round_mode_32 0
		.amdhsa_float_round_mode_16_64 0
		.amdhsa_float_denorm_mode_32 3
		.amdhsa_float_denorm_mode_16_64 3
		.amdhsa_dx10_clamp 1
		.amdhsa_ieee_mode 1
		.amdhsa_fp16_overflow 0
		.amdhsa_tg_split 0
		.amdhsa_exception_fp_ieee_invalid_op 0
		.amdhsa_exception_fp_denorm_src 0
		.amdhsa_exception_fp_ieee_div_zero 0
		.amdhsa_exception_fp_ieee_overflow 0
		.amdhsa_exception_fp_ieee_underflow 0
		.amdhsa_exception_fp_ieee_inexact 0
		.amdhsa_exception_int_div_zero 0
	.end_amdhsa_kernel
	.section	.text._ZN4vllm18act_and_mul_kernelIN3c108BFloat16E15__hip_bfloat162TnPFT_RKS4_EXadL_ZNS_11gelu_kernelIS2_EES4_S6_EETnPFT0_RKSA_EXadL_ZNS_18packed_gelu_kernelIS3_EES4_S6_EELb1ELb1ELb0ELb0EEEvPS4_PS5_if,"axG",@progbits,_ZN4vllm18act_and_mul_kernelIN3c108BFloat16E15__hip_bfloat162TnPFT_RKS4_EXadL_ZNS_11gelu_kernelIS2_EES4_S6_EETnPFT0_RKSA_EXadL_ZNS_18packed_gelu_kernelIS3_EES4_S6_EELb1ELb1ELb0ELb0EEEvPS4_PS5_if,comdat
.Lfunc_end34:
	.size	_ZN4vllm18act_and_mul_kernelIN3c108BFloat16E15__hip_bfloat162TnPFT_RKS4_EXadL_ZNS_11gelu_kernelIS2_EES4_S6_EETnPFT0_RKSA_EXadL_ZNS_18packed_gelu_kernelIS3_EES4_S6_EELb1ELb1ELb0ELb0EEEvPS4_PS5_if, .Lfunc_end34-_ZN4vllm18act_and_mul_kernelIN3c108BFloat16E15__hip_bfloat162TnPFT_RKS4_EXadL_ZNS_11gelu_kernelIS2_EES4_S6_EETnPFT0_RKSA_EXadL_ZNS_18packed_gelu_kernelIS3_EES4_S6_EELb1ELb1ELb0ELb0EEEvPS4_PS5_if
                                        ; -- End function
	.section	.AMDGPU.csdata,"",@progbits
; Kernel info:
; codeLenInByte = 3620
; NumSgprs: 28
; NumVgprs: 30
; NumAgprs: 0
; TotalNumVgprs: 30
; ScratchSize: 0
; MemoryBound: 0
; FloatMode: 240
; IeeeMode: 1
; LDSByteSize: 0 bytes/workgroup (compile time only)
; SGPRBlocks: 3
; VGPRBlocks: 3
; NumSGPRsForWavesPerEU: 28
; NumVGPRsForWavesPerEU: 30
; AccumOffset: 32
; Occupancy: 8
; WaveLimiterHint : 0
; COMPUTE_PGM_RSRC2:SCRATCH_EN: 0
; COMPUTE_PGM_RSRC2:USER_SGPR: 6
; COMPUTE_PGM_RSRC2:TRAP_HANDLER: 0
; COMPUTE_PGM_RSRC2:TGID_X_EN: 1
; COMPUTE_PGM_RSRC2:TGID_Y_EN: 0
; COMPUTE_PGM_RSRC2:TGID_Z_EN: 0
; COMPUTE_PGM_RSRC2:TIDIG_COMP_CNT: 0
; COMPUTE_PGM_RSRC3_GFX90A:ACCUM_OFFSET: 7
; COMPUTE_PGM_RSRC3_GFX90A:TG_SPLIT: 0
	.section	.text._ZN4vllm18act_and_mul_kernelIf15HIP_vector_typeIfLj2EETnPFT_RKS3_EXadL_ZNS_11gelu_kernelIfEES3_S5_EETnPFT0_RKS9_EXadL_ZNS_18packed_gelu_kernelIS2_EES3_S5_EELb1ELb0ELb0ELb0EEEvPS3_PS4_if,"axG",@progbits,_ZN4vllm18act_and_mul_kernelIf15HIP_vector_typeIfLj2EETnPFT_RKS3_EXadL_ZNS_11gelu_kernelIfEES3_S5_EETnPFT0_RKS9_EXadL_ZNS_18packed_gelu_kernelIS2_EES3_S5_EELb1ELb0ELb0ELb0EEEvPS3_PS4_if,comdat
	.protected	_ZN4vllm18act_and_mul_kernelIf15HIP_vector_typeIfLj2EETnPFT_RKS3_EXadL_ZNS_11gelu_kernelIfEES3_S5_EETnPFT0_RKS9_EXadL_ZNS_18packed_gelu_kernelIS2_EES3_S5_EELb1ELb0ELb0ELb0EEEvPS3_PS4_if ; -- Begin function _ZN4vllm18act_and_mul_kernelIf15HIP_vector_typeIfLj2EETnPFT_RKS3_EXadL_ZNS_11gelu_kernelIfEES3_S5_EETnPFT0_RKS9_EXadL_ZNS_18packed_gelu_kernelIS2_EES3_S5_EELb1ELb0ELb0ELb0EEEvPS3_PS4_if
	.globl	_ZN4vllm18act_and_mul_kernelIf15HIP_vector_typeIfLj2EETnPFT_RKS3_EXadL_ZNS_11gelu_kernelIfEES3_S5_EETnPFT0_RKS9_EXadL_ZNS_18packed_gelu_kernelIS2_EES3_S5_EELb1ELb0ELb0ELb0EEEvPS3_PS4_if
	.p2align	8
	.type	_ZN4vllm18act_and_mul_kernelIf15HIP_vector_typeIfLj2EETnPFT_RKS3_EXadL_ZNS_11gelu_kernelIfEES3_S5_EETnPFT0_RKS9_EXadL_ZNS_18packed_gelu_kernelIS2_EES3_S5_EELb1ELb0ELb0ELb0EEEvPS3_PS4_if,@function
_ZN4vllm18act_and_mul_kernelIf15HIP_vector_typeIfLj2EETnPFT_RKS3_EXadL_ZNS_11gelu_kernelIfEES3_S5_EETnPFT0_RKS9_EXadL_ZNS_18packed_gelu_kernelIS2_EES3_S5_EELb1ELb0ELb0ELb0EEEvPS3_PS4_if: ; @_ZN4vllm18act_and_mul_kernelIf15HIP_vector_typeIfLj2EETnPFT_RKS3_EXadL_ZNS_11gelu_kernelIfEES3_S5_EETnPFT0_RKS9_EXadL_ZNS_18packed_gelu_kernelIS2_EES3_S5_EELb1ELb0ELb0ELb0EEEvPS3_PS4_if
; %bb.0:
	s_load_dword s2, s[4:5], 0x10
	s_waitcnt lgkmcnt(0)
	v_cmp_gt_i32_e32 vcc, s2, v0
	s_and_saveexec_b64 s[0:1], vcc
	s_cbranch_execz .LBB35_16
; %bb.1:
	s_load_dword s0, s[4:5], 0x24
	s_ashr_i32 s3, s2, 31
	v_mov_b32_e32 v2, s3
	v_mov_b32_e32 v1, 0
	s_mov_b32 s19, 0
	s_waitcnt lgkmcnt(0)
	s_and_b32 s17, s0, 0xffff
	v_add_co_u32_e32 v4, vcc, s17, v0
	v_addc_co_u32_e64 v5, s[0:1], 0, 0, vcc
	v_cmp_lt_i64_e32 vcc, s[2:3], v[4:5]
	v_cndmask_b32_e32 v6, v2, v5, vcc
	v_mov_b32_e32 v2, s2
	v_cndmask_b32_e32 v3, v2, v4, vcc
	v_cmp_gt_i64_e32 vcc, s[2:3], v[4:5]
	v_cndmask_b32_e64 v2, 0, 1, vcc
	v_add_co_u32_e32 v4, vcc, v4, v2
	v_addc_co_u32_e32 v5, vcc, 0, v5, vcc
	v_sub_co_u32_e32 v3, vcc, v3, v4
	v_subb_co_u32_e32 v5, vcc, v6, v5, vcc
	v_mov_b32_e32 v4, v1
	v_cmp_ne_u64_e32 vcc, 0, v[4:5]
                                        ; implicit-def: $vgpr6_vgpr7
	s_and_saveexec_b64 s[0:1], vcc
	s_xor_b64 s[8:9], exec, s[0:1]
	s_cbranch_execz .LBB35_3
; %bb.2:
	v_cvt_f32_u32_e32 v4, s17
	v_mov_b32_e32 v6, 0x4f800000
	s_sub_u32 s0, 0, s17
	s_subb_u32 s1, 0, 0
	v_mac_f32_e32 v4, 0, v6
	v_rcp_f32_e32 v4, v4
	v_mul_f32_e32 v4, 0x5f7ffffc, v4
	v_mul_f32_e32 v6, 0x2f800000, v4
	v_trunc_f32_e32 v6, v6
	v_madmk_f32 v4, v6, 0xcf800000, v4
	v_cvt_u32_f32_e32 v6, v6
	v_cvt_u32_f32_e32 v4, v4
	v_mul_lo_u32 v7, s0, v6
	v_mul_hi_u32 v9, s0, v4
	v_mul_lo_u32 v8, s1, v4
	v_add_u32_e32 v7, v9, v7
	v_mul_lo_u32 v10, s0, v4
	v_add_u32_e32 v7, v7, v8
	v_mul_hi_u32 v9, v4, v10
	v_mul_lo_u32 v11, v4, v7
	v_mul_hi_u32 v8, v4, v7
	v_add_co_u32_e32 v9, vcc, v9, v11
	v_addc_co_u32_e32 v8, vcc, 0, v8, vcc
	v_mul_hi_u32 v12, v6, v10
	v_mul_lo_u32 v10, v6, v10
	v_add_co_u32_e32 v9, vcc, v9, v10
	v_mul_hi_u32 v11, v6, v7
	v_addc_co_u32_e32 v8, vcc, v8, v12, vcc
	v_addc_co_u32_e32 v9, vcc, 0, v11, vcc
	v_mul_lo_u32 v7, v6, v7
	v_add_co_u32_e32 v7, vcc, v8, v7
	v_addc_co_u32_e32 v8, vcc, 0, v9, vcc
	v_add_co_u32_e32 v4, vcc, v4, v7
	v_addc_co_u32_e32 v6, vcc, v6, v8, vcc
	v_mul_lo_u32 v7, s0, v6
	v_mul_hi_u32 v8, s0, v4
	v_add_u32_e32 v7, v8, v7
	v_mul_lo_u32 v8, s1, v4
	v_add_u32_e32 v7, v7, v8
	v_mul_lo_u32 v9, s0, v4
	v_mul_hi_u32 v10, v6, v9
	v_mul_lo_u32 v11, v6, v9
	v_mul_lo_u32 v13, v4, v7
	v_mul_hi_u32 v9, v4, v9
	v_mul_hi_u32 v12, v4, v7
	v_add_co_u32_e32 v9, vcc, v9, v13
	v_addc_co_u32_e32 v12, vcc, 0, v12, vcc
	v_add_co_u32_e32 v9, vcc, v9, v11
	v_mul_hi_u32 v8, v6, v7
	v_addc_co_u32_e32 v9, vcc, v12, v10, vcc
	v_addc_co_u32_e32 v8, vcc, 0, v8, vcc
	v_mul_lo_u32 v7, v6, v7
	v_add_co_u32_e32 v7, vcc, v9, v7
	v_addc_co_u32_e32 v8, vcc, 0, v8, vcc
	v_add_co_u32_e32 v4, vcc, v4, v7
	v_addc_co_u32_e32 v8, vcc, v6, v8, vcc
	v_mad_u64_u32 v[6:7], s[0:1], v3, v8, 0
	v_mul_hi_u32 v9, v3, v4
	v_add_co_u32_e32 v10, vcc, v9, v6
	v_addc_co_u32_e32 v11, vcc, 0, v7, vcc
	v_mad_u64_u32 v[6:7], s[0:1], v5, v8, 0
	v_mad_u64_u32 v[8:9], s[0:1], v5, v4, 0
	v_add_co_u32_e32 v4, vcc, v10, v8
	v_addc_co_u32_e32 v4, vcc, v11, v9, vcc
	v_addc_co_u32_e32 v7, vcc, 0, v7, vcc
	v_add_co_u32_e32 v10, vcc, v4, v6
	v_addc_co_u32_e32 v11, vcc, 0, v7, vcc
	v_mad_u64_u32 v[6:7], s[0:1], s17, v10, 0
	v_mov_b32_e32 v4, v7
	v_mad_u64_u32 v[8:9], s[0:1], s17, v11, v[4:5]
	v_sub_co_u32_e32 v3, vcc, v3, v6
	v_subb_co_u32_e32 v4, vcc, v5, v8, vcc
	v_subrev_co_u32_e32 v5, vcc, s17, v3
	v_subbrev_co_u32_e32 v6, vcc, 0, v4, vcc
	v_cmp_le_u32_e32 vcc, s17, v5
	v_cndmask_b32_e64 v5, 0, -1, vcc
	v_cmp_eq_u32_e32 vcc, 0, v6
	v_cndmask_b32_e32 v5, -1, v5, vcc
	v_add_co_u32_e32 v6, vcc, 2, v10
	v_addc_co_u32_e32 v7, vcc, 0, v11, vcc
	v_add_co_u32_e32 v8, vcc, 1, v10
	v_cmp_le_u32_e64 s[0:1], s17, v3
	v_addc_co_u32_e32 v9, vcc, 0, v11, vcc
	v_cndmask_b32_e64 v3, 0, -1, s[0:1]
	v_cmp_eq_u32_e64 s[0:1], 0, v4
	v_cmp_ne_u32_e32 vcc, 0, v5
	v_cndmask_b32_e64 v3, -1, v3, s[0:1]
	v_cndmask_b32_e32 v5, v9, v7, vcc
	v_cmp_ne_u32_e64 s[0:1], 0, v3
	v_cndmask_b32_e32 v3, v8, v6, vcc
	v_cndmask_b32_e64 v7, v11, v5, s[0:1]
	v_cndmask_b32_e64 v6, v10, v3, s[0:1]
                                        ; implicit-def: $vgpr3
.LBB35_3:
	s_or_saveexec_b64 s[0:1], s[8:9]
	s_load_dwordx4 s[8:11], s[4:5], 0x0
	s_xor_b64 exec, exec, s[0:1]
	s_cbranch_execz .LBB35_5
; %bb.4:
	v_cvt_f32_u32_e32 v4, s17
	s_sub_i32 s4, 0, s17
	v_mov_b32_e32 v7, 0
	v_rcp_iflag_f32_e32 v4, v4
	v_mul_f32_e32 v4, 0x4f7ffffe, v4
	v_cvt_u32_f32_e32 v4, v4
	v_mul_lo_u32 v5, s4, v4
	v_mul_hi_u32 v5, v4, v5
	v_add_u32_e32 v4, v4, v5
	v_mul_hi_u32 v4, v3, v4
	v_mul_lo_u32 v5, v4, s17
	v_sub_u32_e32 v3, v3, v5
	v_add_u32_e32 v6, 1, v4
	v_subrev_u32_e32 v5, s17, v3
	v_cmp_le_u32_e32 vcc, s17, v3
	v_cndmask_b32_e32 v3, v3, v5, vcc
	v_cndmask_b32_e32 v4, v4, v6, vcc
	v_add_u32_e32 v5, 1, v4
	v_cmp_le_u32_e32 vcc, s17, v3
	v_cndmask_b32_e32 v6, v4, v5, vcc
.LBB35_5:
	s_or_b64 exec, exec, s[0:1]
	v_add_co_u32_e32 v2, vcc, v6, v2
	v_addc_co_u32_e32 v3, vcc, 0, v7, vcc
	v_add_co_u32_e32 v2, vcc, 1, v2
	v_addc_co_u32_e32 v3, vcc, 0, v3, vcc
	s_mul_i32 s4, s6, s2
	s_mov_b32 s7, 0
	v_cmp_lt_u64_e32 vcc, 1, v[2:3]
	v_cmp_eq_u16_e64 s[0:1], s17, 1
	s_lshl_b32 s6, s4, 1
	s_mov_b32 s5, s7
	s_and_b64 s[14:15], vcc, s[0:1]
	s_mov_b64 s[0:1], -1
	s_and_saveexec_b64 s[12:13], s[14:15]
	s_cbranch_execz .LBB35_9
; %bb.6:
	s_lshl_b64 s[0:1], s[6:7], 2
	s_waitcnt lgkmcnt(0)
	s_add_u32 s0, s10, s0
	v_lshlrev_b32_e32 v6, 2, v0
	s_addc_u32 s1, s11, s1
	v_mov_b32_e32 v8, s1
	v_add_co_u32_e32 v7, vcc, s0, v6
	v_addc_co_u32_e32 v9, vcc, 0, v8, vcc
	s_lshl_b64 s[0:1], s[2:3], 2
	s_lshl_b32 s21, s17, 3
	v_mov_b32_e32 v8, s1
	v_add_co_u32_e32 v14, vcc, s0, v7
	s_lshl_b64 s[0:1], s[4:5], 2
	s_add_u32 s0, s8, s0
	v_addc_co_u32_e32 v15, vcc, v9, v8, vcc
	s_addc_u32 s1, s9, s1
	v_and_b32_e32 v4, -2, v2
	v_mov_b32_e32 v5, v3
	v_mov_b32_e32 v8, s1
	v_add_co_u32_e32 v16, vcc, s0, v6
	v_addc_co_u32_e32 v17, vcc, 0, v8, vcc
	s_mov_b64 s[14:15], 0
	s_mov_b32 s16, 0x3f3504f3
	s_brev_b32 s23, -2
	v_mov_b32_e32 v6, 0xb9c68948
	s_mov_b32 s18, 0x378e98ab
	s_mov_b32 s20, 0x3b7cd369
	s_mov_b32 s22, 0xbcc618b2
	s_mov_b32 s24, 0x3dda74e4
	s_mov_b32 s26, 0x3f228afd
	s_mov_b32 s28, 0x3e03c728
	s_mov_b32 s25, 0xbfb8aa3b
	s_mov_b32 s27, 0x42ce8ed0
	s_mov_b32 s29, 0xc2b17218
	v_mov_b32_e32 v18, 0x7f800000
	v_mov_b32_e32 v8, 0x3ba10414
	s_mov_b32 s30, 0xba1345e1
	s_mov_b32 s34, 0xbcdac9b8
	;; [unrolled: 1-line block ×5, first 2 shown]
	s_mov_b64 s[42:43], 0
	v_pk_mov_b32 v[10:11], v[4:5], v[4:5] op_sel:[0,1]
.LBB35_7:                               ; =>This Inner Loop Header: Depth=1
	v_mov_b32_e32 v19, s43
	v_add_co_u32_e32 v12, vcc, s42, v7
	v_addc_co_u32_e32 v13, vcc, v9, v19, vcc
	global_load_dwordx2 v[20:21], v[12:13], off
	v_add_co_u32_e32 v12, vcc, s42, v14
	v_addc_co_u32_e32 v13, vcc, v15, v19, vcc
	global_load_dwordx2 v[12:13], v[12:13], off
	v_add_co_u32_e32 v10, vcc, -2, v10
	v_addc_co_u32_e32 v11, vcc, -1, v11, vcc
	v_add_co_u32_e32 v22, vcc, s42, v16
	v_addc_co_u32_e32 v23, vcc, v17, v19, vcc
	s_add_u32 s42, s42, s21
	s_addc_u32 s43, s43, 0
	v_cmp_eq_u64_e32 vcc, 0, v[10:11]
	s_or_b64 s[14:15], vcc, s[14:15]
	s_waitcnt vmcnt(1)
	v_pk_mul_f32 v[24:25], v[20:21], s[16:17] op_sel_hi:[1,0]
	v_and_b32_e32 v27, 0x7fffffff, v25
	v_and_b32_e32 v26, 0x7fffffff, v24
	v_pk_mul_f32 v[28:29], v[24:25], v[24:25]
	v_pk_fma_f32 v[30:31], v[26:27], s[18:19], v[6:7] op_sel_hi:[1,0,0]
	v_pk_fma_f32 v[32:33], v[28:29], s[30:31], v[8:9] op_sel_hi:[1,0,0]
	;; [unrolled: 1-line block ×11, first 2 shown]
	v_pk_fma_f32 v[28:29], v[26:27], v[28:29], v[26:27]
	v_pk_fma_f32 v[26:27], v[26:27], v[30:31], v[26:27]
	v_mul_f32_e32 v19, 0xbfb8aa3b, v27
	v_mul_f32_e32 v30, 0xbfb8aa3b, v26
	v_fma_f32 v31, v27, s25, -v19
	v_rndne_f32_e32 v32, v19
	v_fma_f32 v33, v26, s25, -v30
	v_rndne_f32_e32 v34, v30
	v_fmac_f32_e32 v31, 0xb2a5705f, v27
	v_sub_f32_e32 v19, v19, v32
	v_fmac_f32_e32 v33, 0xb2a5705f, v26
	v_sub_f32_e32 v30, v30, v34
	v_add_f32_e32 v19, v19, v31
	v_add_f32_e32 v30, v30, v33
	v_cvt_i32_f32_e32 v32, v32
	v_cvt_i32_f32_e32 v34, v34
	v_exp_f32_e32 v19, v19
	v_exp_f32_e32 v30, v30
	v_cmp_nlt_f32_e32 vcc, s27, v26
	v_cmp_nlt_f32_e64 s[0:1], s27, v27
	v_ldexp_f32 v19, v19, v32
	v_ldexp_f32 v30, v30, v34
	v_cndmask_b32_e64 v19, 0, v19, s[0:1]
	v_cndmask_b32_e32 v30, 0, v30, vcc
	v_cmp_ngt_f32_e32 vcc, s29, v26
	v_cmp_ngt_f32_e64 s[0:1], s29, v27
	v_cndmask_b32_e64 v27, v18, v19, s[0:1]
	v_cndmask_b32_e32 v26, v18, v30, vcc
	v_pk_add_f32 v[26:27], v[26:27], 1.0 op_sel_hi:[1,0] neg_lo:[1,0] neg_hi:[1,0]
	v_cmp_nlt_f32_e64 vcc, |v25|, 1.0
	v_cmp_nlt_f32_e64 s[0:1], |v24|, 1.0
	v_cndmask_b32_e64 v19, v28, v26, s[0:1]
	v_cndmask_b32_e32 v26, v29, v27, vcc
	v_bfi_b32 v25, s23, v26, v25
	v_bfi_b32 v24, s23, v19, v24
	v_pk_mul_f32 v[20:21], v[20:21], 0.5 op_sel_hi:[1,0]
	v_pk_add_f32 v[24:25], v[24:25], 1.0 op_sel_hi:[1,0]
	v_pk_mul_f32 v[20:21], v[20:21], v[24:25]
	s_waitcnt vmcnt(0)
	v_pk_mul_f32 v[12:13], v[12:13], v[20:21]
	global_store_dwordx2 v[22:23], v[12:13], off
	s_andn2_b64 exec, exec, s[14:15]
	s_cbranch_execnz .LBB35_7
; %bb.8:
	s_or_b64 exec, exec, s[14:15]
	v_mad_u64_u32 v[0:1], s[0:1], v4, s17, v[0:1]
	v_mov_b32_e32 v6, v1
	v_mad_u64_u32 v[6:7], s[0:1], v5, s17, v[6:7]
	v_cmp_ne_u64_e32 vcc, v[2:3], v[4:5]
	v_mov_b32_e32 v1, v6
	s_orn2_b64 s[0:1], vcc, exec
.LBB35_9:
	s_or_b64 exec, exec, s[12:13]
	s_and_b64 exec, exec, s[0:1]
	s_cbranch_execz .LBB35_16
; %bb.10:
	s_lshl_b64 s[0:1], s[6:7], 2
	s_waitcnt lgkmcnt(0)
	s_add_u32 s6, s10, s0
	s_addc_u32 s10, s11, s1
	s_lshl_b64 s[0:1], s[2:3], 2
	s_add_u32 s7, s6, s0
	s_addc_u32 s11, s10, s1
	s_lshl_b64 s[0:1], s[4:5], 2
	s_add_u32 s8, s8, s0
	s_addc_u32 s4, s9, s1
	s_mov_b32 s5, 0
	v_lshlrev_b64 v[2:3], 2, v[0:1]
	s_lshl_b32 s9, s17, 2
	s_mov_b64 s[0:1], 0
	v_mov_b32_e32 v4, s10
	v_mov_b32_e32 v5, s11
	s_mov_b32 s10, 0x378e98ab
	s_mov_b32 s11, 0x3b7cd369
	;; [unrolled: 1-line block ×9, first 2 shown]
	v_mov_b32_e32 v6, 0xbcdac9b8
	v_mov_b32_e32 v7, 0x3de703be
	;; [unrolled: 1-line block ×4, first 2 shown]
	s_brev_b32 s21, -2
	v_mov_b32_e32 v10, s4
	v_mov_b32_e32 v11, s19
	;; [unrolled: 1-line block ×5, first 2 shown]
	s_branch .LBB35_12
.LBB35_11:                              ;   in Loop: Header=BB35_12 Depth=1
	s_or_b64 exec, exec, s[4:5]
	v_bfi_b32 v17, s21, v18, v17
	v_mul_f32_e32 v15, 0.5, v15
	v_add_f32_e32 v17, 1.0, v17
	v_mul_f32_e32 v15, v15, v17
	s_waitcnt vmcnt(0)
	v_mul_f32_e32 v15, v16, v15
	v_add_co_u32_e32 v16, vcc, s8, v2
	v_addc_co_u32_e32 v17, vcc, v10, v3, vcc
	v_add_co_u32_e32 v0, vcc, s17, v0
	v_addc_co_u32_e32 v1, vcc, v1, v11, vcc
	v_cmp_le_i64_e32 vcc, s[2:3], v[0:1]
	s_or_b64 s[0:1], vcc, s[0:1]
	v_add_co_u32_e32 v2, vcc, s9, v2
	v_addc_co_u32_e32 v3, vcc, v3, v12, vcc
	global_store_dword v[16:17], v15, off
	s_andn2_b64 exec, exec, s[0:1]
	s_cbranch_execz .LBB35_16
.LBB35_12:                              ; =>This Inner Loop Header: Depth=1
	v_add_co_u32_e32 v16, vcc, s6, v2
	v_addc_co_u32_e32 v17, vcc, v4, v3, vcc
	global_load_dword v15, v[16:17], off
	v_add_co_u32_e32 v16, vcc, s7, v2
	v_addc_co_u32_e32 v17, vcc, v5, v3, vcc
	global_load_dword v16, v[16:17], off
                                        ; implicit-def: $vgpr18
	s_waitcnt vmcnt(1)
	v_mul_f32_e32 v17, 0x3f3504f3, v15
	v_cmp_nlt_f32_e64 s[4:5], |v17|, 1.0
	s_and_saveexec_b64 s[22:23], s[4:5]
	s_xor_b64 s[4:5], exec, s[22:23]
	s_cbranch_execz .LBB35_14
; %bb.13:                               ;   in Loop: Header=BB35_12 Depth=1
	v_fma_f32 v18, |v17|, s10, v13
	v_fma_f32 v18, |v17|, v18, s11
	;; [unrolled: 1-line block ×6, first 2 shown]
	v_fma_f32 v18, |v17|, v18, |v17|
	v_mul_f32_e32 v19, 0xbfb8aa3b, v18
	v_fma_f32 v20, v18, s16, -v19
	v_rndne_f32_e32 v21, v19
	v_fmac_f32_e32 v20, 0xb2a5705f, v18
	v_sub_f32_e32 v19, v19, v21
	v_add_f32_e32 v19, v19, v20
	v_cvt_i32_f32_e32 v20, v21
	v_exp_f32_e32 v19, v19
	v_cmp_nlt_f32_e32 vcc, s18, v18
	v_ldexp_f32 v19, v19, v20
	v_cndmask_b32_e32 v19, 0, v19, vcc
	v_cmp_ngt_f32_e32 vcc, s20, v18
	v_cndmask_b32_e32 v18, v14, v19, vcc
	v_sub_f32_e32 v18, 1.0, v18
.LBB35_14:                              ;   in Loop: Header=BB35_12 Depth=1
	s_andn2_saveexec_b64 s[4:5], s[4:5]
	s_cbranch_execz .LBB35_11
; %bb.15:                               ;   in Loop: Header=BB35_12 Depth=1
	v_mul_f32_e32 v18, v17, v17
	v_mov_b32_e32 v19, 0x3ba10414
	v_fmac_f32_e32 v19, 0xba1345e1, v18
	v_fma_f32 v19, v18, v19, v6
	v_fma_f32 v19, v18, v19, v7
	;; [unrolled: 1-line block ×4, first 2 shown]
	v_fma_f32 v18, |v17|, v18, |v17|
	s_branch .LBB35_11
.LBB35_16:
	s_endpgm
	.section	.rodata,"a",@progbits
	.p2align	6, 0x0
	.amdhsa_kernel _ZN4vllm18act_and_mul_kernelIf15HIP_vector_typeIfLj2EETnPFT_RKS3_EXadL_ZNS_11gelu_kernelIfEES3_S5_EETnPFT0_RKS9_EXadL_ZNS_18packed_gelu_kernelIS2_EES3_S5_EELb1ELb0ELb0ELb0EEEvPS3_PS4_if
		.amdhsa_group_segment_fixed_size 0
		.amdhsa_private_segment_fixed_size 0
		.amdhsa_kernarg_size 280
		.amdhsa_user_sgpr_count 6
		.amdhsa_user_sgpr_private_segment_buffer 1
		.amdhsa_user_sgpr_dispatch_ptr 0
		.amdhsa_user_sgpr_queue_ptr 0
		.amdhsa_user_sgpr_kernarg_segment_ptr 1
		.amdhsa_user_sgpr_dispatch_id 0
		.amdhsa_user_sgpr_flat_scratch_init 0
		.amdhsa_user_sgpr_kernarg_preload_length 0
		.amdhsa_user_sgpr_kernarg_preload_offset 0
		.amdhsa_user_sgpr_private_segment_size 0
		.amdhsa_uses_dynamic_stack 0
		.amdhsa_system_sgpr_private_segment_wavefront_offset 0
		.amdhsa_system_sgpr_workgroup_id_x 1
		.amdhsa_system_sgpr_workgroup_id_y 0
		.amdhsa_system_sgpr_workgroup_id_z 0
		.amdhsa_system_sgpr_workgroup_info 0
		.amdhsa_system_vgpr_workitem_id 0
		.amdhsa_next_free_vgpr 35
		.amdhsa_next_free_sgpr 44
		.amdhsa_accum_offset 36
		.amdhsa_reserve_vcc 1
		.amdhsa_reserve_flat_scratch 0
		.amdhsa_float_round_mode_32 0
		.amdhsa_float_round_mode_16_64 0
		.amdhsa_float_denorm_mode_32 3
		.amdhsa_float_denorm_mode_16_64 3
		.amdhsa_dx10_clamp 1
		.amdhsa_ieee_mode 1
		.amdhsa_fp16_overflow 0
		.amdhsa_tg_split 0
		.amdhsa_exception_fp_ieee_invalid_op 0
		.amdhsa_exception_fp_denorm_src 0
		.amdhsa_exception_fp_ieee_div_zero 0
		.amdhsa_exception_fp_ieee_overflow 0
		.amdhsa_exception_fp_ieee_underflow 0
		.amdhsa_exception_fp_ieee_inexact 0
		.amdhsa_exception_int_div_zero 0
	.end_amdhsa_kernel
	.section	.text._ZN4vllm18act_and_mul_kernelIf15HIP_vector_typeIfLj2EETnPFT_RKS3_EXadL_ZNS_11gelu_kernelIfEES3_S5_EETnPFT0_RKS9_EXadL_ZNS_18packed_gelu_kernelIS2_EES3_S5_EELb1ELb0ELb0ELb0EEEvPS3_PS4_if,"axG",@progbits,_ZN4vllm18act_and_mul_kernelIf15HIP_vector_typeIfLj2EETnPFT_RKS3_EXadL_ZNS_11gelu_kernelIfEES3_S5_EETnPFT0_RKS9_EXadL_ZNS_18packed_gelu_kernelIS2_EES3_S5_EELb1ELb0ELb0ELb0EEEvPS3_PS4_if,comdat
.Lfunc_end35:
	.size	_ZN4vllm18act_and_mul_kernelIf15HIP_vector_typeIfLj2EETnPFT_RKS3_EXadL_ZNS_11gelu_kernelIfEES3_S5_EETnPFT0_RKS9_EXadL_ZNS_18packed_gelu_kernelIS2_EES3_S5_EELb1ELb0ELb0ELb0EEEvPS3_PS4_if, .Lfunc_end35-_ZN4vllm18act_and_mul_kernelIf15HIP_vector_typeIfLj2EETnPFT_RKS3_EXadL_ZNS_11gelu_kernelIfEES3_S5_EETnPFT0_RKS9_EXadL_ZNS_18packed_gelu_kernelIS2_EES3_S5_EELb1ELb0ELb0ELb0EEEvPS3_PS4_if
                                        ; -- End function
	.section	.AMDGPU.csdata,"",@progbits
; Kernel info:
; codeLenInByte = 2168
; NumSgprs: 48
; NumVgprs: 35
; NumAgprs: 0
; TotalNumVgprs: 35
; ScratchSize: 0
; MemoryBound: 0
; FloatMode: 240
; IeeeMode: 1
; LDSByteSize: 0 bytes/workgroup (compile time only)
; SGPRBlocks: 5
; VGPRBlocks: 4
; NumSGPRsForWavesPerEU: 48
; NumVGPRsForWavesPerEU: 35
; AccumOffset: 36
; Occupancy: 8
; WaveLimiterHint : 0
; COMPUTE_PGM_RSRC2:SCRATCH_EN: 0
; COMPUTE_PGM_RSRC2:USER_SGPR: 6
; COMPUTE_PGM_RSRC2:TRAP_HANDLER: 0
; COMPUTE_PGM_RSRC2:TGID_X_EN: 1
; COMPUTE_PGM_RSRC2:TGID_Y_EN: 0
; COMPUTE_PGM_RSRC2:TGID_Z_EN: 0
; COMPUTE_PGM_RSRC2:TIDIG_COMP_CNT: 0
; COMPUTE_PGM_RSRC3_GFX90A:ACCUM_OFFSET: 8
; COMPUTE_PGM_RSRC3_GFX90A:TG_SPLIT: 0
	.section	.text._ZN4vllm18act_and_mul_kernelIN3c104HalfE7__half2TnPFT_RKS4_EXadL_ZNS_11gelu_kernelIS2_EES4_S6_EETnPFT0_RKSA_EXadL_ZNS_18packed_gelu_kernelIS3_EES4_S6_EELb1ELb0ELb0ELb0EEEvPS4_PS5_if,"axG",@progbits,_ZN4vllm18act_and_mul_kernelIN3c104HalfE7__half2TnPFT_RKS4_EXadL_ZNS_11gelu_kernelIS2_EES4_S6_EETnPFT0_RKSA_EXadL_ZNS_18packed_gelu_kernelIS3_EES4_S6_EELb1ELb0ELb0ELb0EEEvPS4_PS5_if,comdat
	.protected	_ZN4vllm18act_and_mul_kernelIN3c104HalfE7__half2TnPFT_RKS4_EXadL_ZNS_11gelu_kernelIS2_EES4_S6_EETnPFT0_RKSA_EXadL_ZNS_18packed_gelu_kernelIS3_EES4_S6_EELb1ELb0ELb0ELb0EEEvPS4_PS5_if ; -- Begin function _ZN4vllm18act_and_mul_kernelIN3c104HalfE7__half2TnPFT_RKS4_EXadL_ZNS_11gelu_kernelIS2_EES4_S6_EETnPFT0_RKSA_EXadL_ZNS_18packed_gelu_kernelIS3_EES4_S6_EELb1ELb0ELb0ELb0EEEvPS4_PS5_if
	.globl	_ZN4vllm18act_and_mul_kernelIN3c104HalfE7__half2TnPFT_RKS4_EXadL_ZNS_11gelu_kernelIS2_EES4_S6_EETnPFT0_RKSA_EXadL_ZNS_18packed_gelu_kernelIS3_EES4_S6_EELb1ELb0ELb0ELb0EEEvPS4_PS5_if
	.p2align	8
	.type	_ZN4vllm18act_and_mul_kernelIN3c104HalfE7__half2TnPFT_RKS4_EXadL_ZNS_11gelu_kernelIS2_EES4_S6_EETnPFT0_RKSA_EXadL_ZNS_18packed_gelu_kernelIS3_EES4_S6_EELb1ELb0ELb0ELb0EEEvPS4_PS5_if,@function
_ZN4vllm18act_and_mul_kernelIN3c104HalfE7__half2TnPFT_RKS4_EXadL_ZNS_11gelu_kernelIS2_EES4_S6_EETnPFT0_RKSA_EXadL_ZNS_18packed_gelu_kernelIS3_EES4_S6_EELb1ELb0ELb0ELb0EEEvPS4_PS5_if: ; @_ZN4vllm18act_and_mul_kernelIN3c104HalfE7__half2TnPFT_RKS4_EXadL_ZNS_11gelu_kernelIS2_EES4_S6_EETnPFT0_RKSA_EXadL_ZNS_18packed_gelu_kernelIS3_EES4_S6_EELb1ELb0ELb0ELb0EEEvPS4_PS5_if
; %bb.0:
	s_load_dword s12, s[4:5], 0x10
	s_waitcnt lgkmcnt(0)
	v_cmp_gt_i32_e32 vcc, s12, v0
	s_and_saveexec_b64 s[0:1], vcc
	s_cbranch_execz .LBB36_16
; %bb.1:
	s_load_dword s0, s[4:5], 0x24
	s_ashr_i32 s13, s12, 31
	v_mov_b32_e32 v2, s13
	v_mov_b32_e32 v1, 0
	s_mov_b32 s25, 0
	s_waitcnt lgkmcnt(0)
	s_and_b32 s23, s0, 0xffff
	v_add_co_u32_e32 v4, vcc, s23, v0
	v_addc_co_u32_e64 v5, s[0:1], 0, 0, vcc
	v_cmp_lt_i64_e32 vcc, s[12:13], v[4:5]
	v_cndmask_b32_e32 v6, v2, v5, vcc
	v_mov_b32_e32 v2, s12
	v_cndmask_b32_e32 v3, v2, v4, vcc
	v_cmp_gt_i64_e32 vcc, s[12:13], v[4:5]
	v_cndmask_b32_e64 v2, 0, 1, vcc
	v_add_co_u32_e32 v4, vcc, v4, v2
	v_addc_co_u32_e32 v5, vcc, 0, v5, vcc
	v_sub_co_u32_e32 v3, vcc, v3, v4
	v_subb_co_u32_e32 v5, vcc, v6, v5, vcc
	v_mov_b32_e32 v4, v1
	v_cmp_ne_u64_e32 vcc, 0, v[4:5]
                                        ; implicit-def: $vgpr6_vgpr7
	s_and_saveexec_b64 s[0:1], vcc
	s_xor_b64 s[2:3], exec, s[0:1]
	s_cbranch_execz .LBB36_3
; %bb.2:
	v_cvt_f32_u32_e32 v4, s23
	v_mov_b32_e32 v6, 0x4f800000
	s_sub_u32 s0, 0, s23
	s_subb_u32 s1, 0, 0
	v_mac_f32_e32 v4, 0, v6
	v_rcp_f32_e32 v4, v4
	v_mul_f32_e32 v4, 0x5f7ffffc, v4
	v_mul_f32_e32 v6, 0x2f800000, v4
	v_trunc_f32_e32 v6, v6
	v_madmk_f32 v4, v6, 0xcf800000, v4
	v_cvt_u32_f32_e32 v6, v6
	v_cvt_u32_f32_e32 v4, v4
	v_mul_lo_u32 v7, s0, v6
	v_mul_hi_u32 v9, s0, v4
	v_mul_lo_u32 v8, s1, v4
	v_add_u32_e32 v7, v9, v7
	v_mul_lo_u32 v10, s0, v4
	v_add_u32_e32 v7, v7, v8
	v_mul_hi_u32 v9, v4, v10
	v_mul_lo_u32 v11, v4, v7
	v_mul_hi_u32 v8, v4, v7
	v_add_co_u32_e32 v9, vcc, v9, v11
	v_addc_co_u32_e32 v8, vcc, 0, v8, vcc
	v_mul_hi_u32 v12, v6, v10
	v_mul_lo_u32 v10, v6, v10
	v_add_co_u32_e32 v9, vcc, v9, v10
	v_mul_hi_u32 v11, v6, v7
	v_addc_co_u32_e32 v8, vcc, v8, v12, vcc
	v_addc_co_u32_e32 v9, vcc, 0, v11, vcc
	v_mul_lo_u32 v7, v6, v7
	v_add_co_u32_e32 v7, vcc, v8, v7
	v_addc_co_u32_e32 v8, vcc, 0, v9, vcc
	v_add_co_u32_e32 v4, vcc, v4, v7
	v_addc_co_u32_e32 v6, vcc, v6, v8, vcc
	v_mul_lo_u32 v7, s0, v6
	v_mul_hi_u32 v8, s0, v4
	v_add_u32_e32 v7, v8, v7
	v_mul_lo_u32 v8, s1, v4
	v_add_u32_e32 v7, v7, v8
	v_mul_lo_u32 v9, s0, v4
	v_mul_hi_u32 v10, v6, v9
	v_mul_lo_u32 v11, v6, v9
	v_mul_lo_u32 v13, v4, v7
	v_mul_hi_u32 v9, v4, v9
	v_mul_hi_u32 v12, v4, v7
	v_add_co_u32_e32 v9, vcc, v9, v13
	v_addc_co_u32_e32 v12, vcc, 0, v12, vcc
	v_add_co_u32_e32 v9, vcc, v9, v11
	v_mul_hi_u32 v8, v6, v7
	v_addc_co_u32_e32 v9, vcc, v12, v10, vcc
	v_addc_co_u32_e32 v8, vcc, 0, v8, vcc
	v_mul_lo_u32 v7, v6, v7
	v_add_co_u32_e32 v7, vcc, v9, v7
	v_addc_co_u32_e32 v8, vcc, 0, v8, vcc
	v_add_co_u32_e32 v4, vcc, v4, v7
	v_addc_co_u32_e32 v8, vcc, v6, v8, vcc
	v_mad_u64_u32 v[6:7], s[0:1], v3, v8, 0
	v_mul_hi_u32 v9, v3, v4
	v_add_co_u32_e32 v10, vcc, v9, v6
	v_addc_co_u32_e32 v11, vcc, 0, v7, vcc
	v_mad_u64_u32 v[6:7], s[0:1], v5, v8, 0
	v_mad_u64_u32 v[8:9], s[0:1], v5, v4, 0
	v_add_co_u32_e32 v4, vcc, v10, v8
	v_addc_co_u32_e32 v4, vcc, v11, v9, vcc
	v_addc_co_u32_e32 v7, vcc, 0, v7, vcc
	v_add_co_u32_e32 v10, vcc, v4, v6
	v_addc_co_u32_e32 v11, vcc, 0, v7, vcc
	v_mad_u64_u32 v[6:7], s[0:1], s23, v10, 0
	v_mov_b32_e32 v4, v7
	v_mad_u64_u32 v[8:9], s[0:1], s23, v11, v[4:5]
	v_sub_co_u32_e32 v3, vcc, v3, v6
	v_subb_co_u32_e32 v4, vcc, v5, v8, vcc
	v_subrev_co_u32_e32 v5, vcc, s23, v3
	v_subbrev_co_u32_e32 v6, vcc, 0, v4, vcc
	v_cmp_le_u32_e32 vcc, s23, v5
	v_cndmask_b32_e64 v5, 0, -1, vcc
	v_cmp_eq_u32_e32 vcc, 0, v6
	v_cndmask_b32_e32 v5, -1, v5, vcc
	v_add_co_u32_e32 v6, vcc, 2, v10
	v_addc_co_u32_e32 v7, vcc, 0, v11, vcc
	v_add_co_u32_e32 v8, vcc, 1, v10
	v_cmp_le_u32_e64 s[0:1], s23, v3
	v_addc_co_u32_e32 v9, vcc, 0, v11, vcc
	v_cndmask_b32_e64 v3, 0, -1, s[0:1]
	v_cmp_eq_u32_e64 s[0:1], 0, v4
	v_cmp_ne_u32_e32 vcc, 0, v5
	v_cndmask_b32_e64 v3, -1, v3, s[0:1]
	v_cndmask_b32_e32 v5, v9, v7, vcc
	v_cmp_ne_u32_e64 s[0:1], 0, v3
	v_cndmask_b32_e32 v3, v8, v6, vcc
	v_cndmask_b32_e64 v7, v11, v5, s[0:1]
	v_cndmask_b32_e64 v6, v10, v3, s[0:1]
                                        ; implicit-def: $vgpr3
.LBB36_3:
	s_or_saveexec_b64 s[0:1], s[2:3]
	s_load_dwordx4 s[8:11], s[4:5], 0x0
	s_xor_b64 exec, exec, s[0:1]
	s_cbranch_execz .LBB36_5
; %bb.4:
	v_cvt_f32_u32_e32 v4, s23
	s_sub_i32 s2, 0, s23
	v_mov_b32_e32 v7, 0
	v_rcp_iflag_f32_e32 v4, v4
	v_mul_f32_e32 v4, 0x4f7ffffe, v4
	v_cvt_u32_f32_e32 v4, v4
	v_mul_lo_u32 v5, s2, v4
	v_mul_hi_u32 v5, v4, v5
	v_add_u32_e32 v4, v4, v5
	v_mul_hi_u32 v4, v3, v4
	v_mul_lo_u32 v5, v4, s23
	v_sub_u32_e32 v3, v3, v5
	v_add_u32_e32 v6, 1, v4
	v_subrev_u32_e32 v5, s23, v3
	v_cmp_le_u32_e32 vcc, s23, v3
	v_cndmask_b32_e32 v3, v3, v5, vcc
	v_cndmask_b32_e32 v4, v4, v6, vcc
	v_add_u32_e32 v5, 1, v4
	v_cmp_le_u32_e32 vcc, s23, v3
	v_cndmask_b32_e32 v6, v4, v5, vcc
.LBB36_5:
	s_or_b64 exec, exec, s[0:1]
	v_add_co_u32_e32 v2, vcc, v6, v2
	v_addc_co_u32_e32 v3, vcc, 0, v7, vcc
	v_add_co_u32_e32 v2, vcc, 1, v2
	v_addc_co_u32_e32 v3, vcc, 0, v3, vcc
	s_mul_i32 s14, s6, s12
	s_mov_b32 s17, 0
	v_cmp_lt_u64_e32 vcc, 3, v[2:3]
	v_cmp_eq_u16_e64 s[0:1], s23, 1
	s_lshl_b32 s16, s14, 1
	s_mov_b32 s15, s17
	s_and_b64 s[2:3], vcc, s[0:1]
	s_mov_b64 s[0:1], -1
	s_and_saveexec_b64 s[18:19], s[2:3]
	s_cbranch_execz .LBB36_9
; %bb.6:
	s_lshl_b64 s[0:1], s[16:17], 1
	s_waitcnt lgkmcnt(0)
	s_add_u32 s0, s10, s0
	v_lshlrev_b32_e32 v6, 1, v0
	s_addc_u32 s1, s11, s1
	v_mov_b32_e32 v7, s1
	v_add_co_u32_e32 v16, vcc, s0, v6
	v_addc_co_u32_e32 v17, vcc, 0, v7, vcc
	s_lshl_b64 s[0:1], s[12:13], 1
	s_lshl_b32 s27, s23, 3
	v_mov_b32_e32 v7, s1
	v_add_co_u32_e32 v18, vcc, s0, v16
	s_lshl_b64 s[0:1], s[14:15], 1
	s_add_u32 s0, s8, s0
	v_addc_co_u32_e32 v19, vcc, v17, v7, vcc
	s_addc_u32 s1, s9, s1
	v_mov_b32_e32 v7, s1
	v_add_co_u32_e32 v20, vcc, s0, v6
	s_mov_b32 s0, 0xb9c68948
	v_and_b32_e32 v4, -4, v2
	v_mov_b32_e32 v5, v3
	v_addc_co_u32_e32 v21, vcc, 0, v7, vcc
	v_pk_mov_b32 v[6:7], s[0:1], s[0:1] op_sel:[0,1]
	s_mov_b32 s0, 0x3ba10414
	s_mov_b64 s[20:21], 0
	s_mov_b32 s22, 0x3f3504f3
	s_brev_b32 s29, -2
	s_mov_b32 s24, 0x378e98ab
	s_mov_b32 s26, 0x3b7cd369
	;; [unrolled: 1-line block ×9, first 2 shown]
	v_mov_b32_e32 v22, 0x7f800000
	s_mov_b32 s38, 0xba1345e1
	v_pk_mov_b32 v[8:9], s[0:1], s[0:1] op_sel:[0,1]
	s_mov_b32 s40, 0xbcdac9b8
	s_mov_b32 s42, 0x3de703be
	;; [unrolled: 1-line block ×4, first 2 shown]
	s_mov_b64 s[48:49], 0
	v_pk_mov_b32 v[10:11], v[4:5], v[4:5] op_sel:[0,1]
.LBB36_7:                               ; =>This Inner Loop Header: Depth=1
	v_add_co_u32_e64 v10, s[2:3], -4, v10
	v_addc_co_u32_e64 v11, s[2:3], -1, v11, s[2:3]
	v_mov_b32_e32 v15, s49
	v_add_co_u32_e64 v24, s[2:3], s48, v16
	v_add_co_u32_e32 v12, vcc, s48, v18
	v_addc_co_u32_e64 v25, s[2:3], v17, v15, s[2:3]
	v_addc_co_u32_e32 v13, vcc, v19, v15, vcc
	global_load_dwordx2 v[26:27], v[24:25], off
	global_load_dwordx2 v[28:29], v[12:13], off
	v_add_co_u32_e64 v14, s[0:1], s48, v20
	v_addc_co_u32_e64 v15, vcc, v21, v15, s[0:1]
	s_add_u32 s48, s48, s27
	s_addc_u32 s49, s49, 0
	v_cmp_eq_u64_e32 vcc, 0, v[10:11]
	s_or_b64 s[20:21], vcc, s[20:21]
	s_waitcnt vmcnt(1)
	v_cvt_f32_f16_e32 v12, v26
	v_cvt_f32_f16_e32 v24, v27
	v_cvt_f32_f16_sdwa v25, v27 dst_sel:DWORD dst_unused:UNUSED_PAD src0_sel:WORD_1
	v_cvt_f32_f16_sdwa v13, v26 dst_sel:DWORD dst_unused:UNUSED_PAD src0_sel:WORD_1
	v_pk_mul_f32 v[26:27], v[24:25], s[22:23] op_sel_hi:[1,0]
	v_pk_mul_f32 v[30:31], v[12:13], s[22:23] op_sel_hi:[1,0]
	v_and_b32_e32 v33, 0x7fffffff, v31
	v_and_b32_e32 v32, 0x7fffffff, v30
	v_and_b32_e32 v35, 0x7fffffff, v27
	v_and_b32_e32 v34, 0x7fffffff, v26
	v_pk_mul_f32 v[36:37], v[26:27], v[26:27]
	v_pk_mul_f32 v[38:39], v[30:31], v[30:31]
	v_pk_fma_f32 v[40:41], v[32:33], s[24:25], v[6:7] op_sel_hi:[1,0,0]
	v_pk_fma_f32 v[42:43], v[34:35], s[24:25], v[6:7] op_sel_hi:[1,0,0]
	;; [unrolled: 1-line block ×22, first 2 shown]
	v_pk_fma_f32 v[36:37], v[34:35], v[36:37], v[34:35]
	v_pk_fma_f32 v[38:39], v[32:33], v[38:39], v[32:33]
	;; [unrolled: 1-line block ×4, first 2 shown]
	v_mul_f32_e32 v23, 0xbfb8aa3b, v32
	v_mul_f32_e32 v40, 0xbfb8aa3b, v33
	;; [unrolled: 1-line block ×4, first 2 shown]
	v_fma_f32 v43, v32, s31, -v23
	v_rndne_f32_e32 v44, v23
	v_fma_f32 v45, v33, s31, -v40
	v_rndne_f32_e32 v46, v40
	v_fma_f32 v47, v34, s31, -v41
	v_rndne_f32_e32 v48, v41
	v_fma_f32 v49, v35, s31, -v42
	v_rndne_f32_e32 v50, v42
	v_fmac_f32_e32 v43, 0xb2a5705f, v32
	v_sub_f32_e32 v23, v23, v44
	v_fmac_f32_e32 v45, 0xb2a5705f, v33
	v_sub_f32_e32 v40, v40, v46
	;; [unrolled: 2-line block ×4, first 2 shown]
	v_add_f32_e32 v23, v23, v43
	v_add_f32_e32 v40, v40, v45
	v_add_f32_e32 v41, v41, v47
	v_add_f32_e32 v42, v42, v49
	v_cvt_i32_f32_e32 v44, v44
	v_cvt_i32_f32_e32 v46, v46
	;; [unrolled: 1-line block ×4, first 2 shown]
	v_exp_f32_e32 v23, v23
	v_exp_f32_e32 v40, v40
	;; [unrolled: 1-line block ×4, first 2 shown]
	v_ldexp_f32 v23, v23, v44
	v_ldexp_f32 v40, v40, v46
	v_cmp_nlt_f32_e64 s[0:1], s33, v33
	v_ldexp_f32 v41, v41, v48
	v_cmp_nlt_f32_e64 s[2:3], s33, v34
	;; [unrolled: 2-line block ×3, first 2 shown]
	v_cmp_nlt_f32_e64 s[6:7], s33, v32
	v_cndmask_b32_e64 v23, 0, v23, s[6:7]
	v_cndmask_b32_e64 v40, 0, v40, s[0:1]
	v_cmp_ngt_f32_e64 s[0:1], s35, v33
	v_cndmask_b32_e64 v33, 0, v41, s[2:3]
	v_cmp_ngt_f32_e64 s[2:3], s35, v34
	;; [unrolled: 2-line block ×3, first 2 shown]
	v_cmp_ngt_f32_e64 s[6:7], s35, v32
	v_cndmask_b32_e64 v23, v22, v23, s[6:7]
	v_cndmask_b32_e64 v32, v22, v40, s[0:1]
	;; [unrolled: 1-line block ×4, first 2 shown]
	v_sub_f32_e32 v34, 1.0, v34
	v_cmp_nlt_f32_e64 s[0:1], |v27|, 1.0
	v_sub_f32_e32 v33, 1.0, v33
	v_cmp_nlt_f32_e64 s[2:3], |v26|, 1.0
	;; [unrolled: 2-line block ×4, first 2 shown]
	v_cndmask_b32_e64 v23, v38, v23, s[6:7]
	v_cndmask_b32_e64 v32, v39, v32, s[4:5]
	;; [unrolled: 1-line block ×4, first 2 shown]
	v_bfi_b32 v27, s29, v34, v27
	v_bfi_b32 v26, s29, v33, v26
	;; [unrolled: 1-line block ×4, first 2 shown]
	v_pk_mul_f32 v[12:13], v[12:13], 0.5 op_sel_hi:[1,0]
	v_pk_mul_f32 v[24:25], v[24:25], 0.5 op_sel_hi:[1,0]
	v_pk_add_f32 v[30:31], v[30:31], 1.0 op_sel_hi:[1,0]
	v_pk_add_f32 v[26:27], v[26:27], 1.0 op_sel_hi:[1,0]
	v_pk_mul_f32 v[24:25], v[24:25], v[26:27]
	v_pk_mul_f32 v[12:13], v[12:13], v[30:31]
	v_cvt_f16_f32_e32 v13, v13
	v_cvt_f16_f32_e32 v23, v25
	;; [unrolled: 1-line block ×4, first 2 shown]
	v_pack_b32_f16 v23, v24, v23
	v_pack_b32_f16 v12, v12, v13
	s_waitcnt vmcnt(0)
	v_pk_mul_f16 v13, v29, v23
	v_pk_mul_f16 v12, v28, v12
	global_store_dwordx2 v[14:15], v[12:13], off
	s_andn2_b64 exec, exec, s[20:21]
	s_cbranch_execnz .LBB36_7
; %bb.8:
	s_or_b64 exec, exec, s[20:21]
	v_mad_u64_u32 v[0:1], s[0:1], v4, s23, v[0:1]
	v_mov_b32_e32 v6, v1
	v_mad_u64_u32 v[6:7], s[0:1], v5, s23, v[6:7]
	v_cmp_ne_u64_e32 vcc, v[2:3], v[4:5]
	v_mov_b32_e32 v1, v6
	s_orn2_b64 s[0:1], vcc, exec
.LBB36_9:
	s_or_b64 exec, exec, s[18:19]
	s_and_b64 exec, exec, s[0:1]
	s_cbranch_execz .LBB36_16
; %bb.10:
	s_lshl_b64 s[0:1], s[16:17], 1
	s_waitcnt lgkmcnt(0)
	s_add_u32 s4, s10, s0
	s_addc_u32 s2, s11, s1
	s_lshl_b64 s[0:1], s[12:13], 1
	s_add_u32 s5, s4, s0
	s_addc_u32 s3, s2, s1
	s_lshl_b64 s[0:1], s[14:15], 1
	s_add_u32 s6, s8, s0
	s_addc_u32 s20, s9, s1
	s_mov_b32 s21, 0
	v_lshlrev_b64 v[2:3], 1, v[0:1]
	s_lshl_b32 s7, s23, 1
	s_mov_b64 s[0:1], 0
	v_mov_b32_e32 v4, s2
	v_mov_b32_e32 v5, s3
	s_mov_b32 s8, 0x378e98ab
	s_mov_b32 s9, 0x3b7cd369
	;; [unrolled: 1-line block ×9, first 2 shown]
	v_mov_b32_e32 v6, 0xbcdac9b8
	v_mov_b32_e32 v7, 0x3de703be
	;; [unrolled: 1-line block ×4, first 2 shown]
	s_brev_b32 s19, -2
	v_mov_b32_e32 v10, s20
	v_mov_b32_e32 v11, s25
	;; [unrolled: 1-line block ×5, first 2 shown]
	s_branch .LBB36_12
.LBB36_11:                              ;   in Loop: Header=BB36_12 Depth=1
	s_or_b64 exec, exec, s[2:3]
	v_bfi_b32 v17, s19, v18, v17
	v_mul_f32_e32 v16, 0.5, v16
	v_add_f32_e32 v17, 1.0, v17
	v_fma_mixlo_f16 v16, v16, v17, 0
	s_waitcnt vmcnt(0)
	v_mul_f16_e32 v15, v15, v16
	v_add_co_u32_e32 v16, vcc, s6, v2
	v_addc_co_u32_e32 v17, vcc, v10, v3, vcc
	v_add_co_u32_e32 v0, vcc, s23, v0
	v_addc_co_u32_e32 v1, vcc, v1, v11, vcc
	v_cmp_le_i64_e32 vcc, s[12:13], v[0:1]
	s_or_b64 s[0:1], vcc, s[0:1]
	v_add_co_u32_e32 v2, vcc, s7, v2
	v_addc_co_u32_e32 v3, vcc, v3, v12, vcc
	global_store_short v[16:17], v15, off
	s_andn2_b64 exec, exec, s[0:1]
	s_cbranch_execz .LBB36_16
.LBB36_12:                              ; =>This Inner Loop Header: Depth=1
	v_add_co_u32_e32 v16, vcc, s4, v2
	v_addc_co_u32_e32 v17, vcc, v4, v3, vcc
	global_load_ushort v18, v[16:17], off
	v_add_co_u32_e32 v16, vcc, s5, v2
	v_addc_co_u32_e32 v17, vcc, v5, v3, vcc
	global_load_ushort v15, v[16:17], off
	s_waitcnt vmcnt(1)
	v_cvt_f32_f16_e32 v16, v18
                                        ; implicit-def: $vgpr18
	v_mul_f32_e32 v17, 0x3f3504f3, v16
	v_cmp_nlt_f32_e64 s[2:3], |v17|, 1.0
	s_and_saveexec_b64 s[20:21], s[2:3]
	s_xor_b64 s[2:3], exec, s[20:21]
	s_cbranch_execz .LBB36_14
; %bb.13:                               ;   in Loop: Header=BB36_12 Depth=1
	v_fma_f32 v18, |v17|, s8, v13
	v_fma_f32 v18, |v17|, v18, s9
	v_fma_f32 v18, |v17|, v18, s10
	v_fma_f32 v18, |v17|, v18, s11
	v_fma_f32 v18, |v17|, v18, s14
	v_fma_f32 v18, |v17|, v18, s15
	v_fma_f32 v18, |v17|, v18, |v17|
	v_mul_f32_e32 v19, 0xbfb8aa3b, v18
	v_fma_f32 v20, v18, s16, -v19
	v_rndne_f32_e32 v21, v19
	v_fmac_f32_e32 v20, 0xb2a5705f, v18
	v_sub_f32_e32 v19, v19, v21
	v_add_f32_e32 v19, v19, v20
	v_cvt_i32_f32_e32 v20, v21
	v_exp_f32_e32 v19, v19
	v_cmp_nlt_f32_e32 vcc, s17, v18
	v_ldexp_f32 v19, v19, v20
	v_cndmask_b32_e32 v19, 0, v19, vcc
	v_cmp_ngt_f32_e32 vcc, s18, v18
	v_cndmask_b32_e32 v18, v14, v19, vcc
	v_sub_f32_e32 v18, 1.0, v18
.LBB36_14:                              ;   in Loop: Header=BB36_12 Depth=1
	s_andn2_saveexec_b64 s[2:3], s[2:3]
	s_cbranch_execz .LBB36_11
; %bb.15:                               ;   in Loop: Header=BB36_12 Depth=1
	v_mul_f32_e32 v18, v17, v17
	v_mov_b32_e32 v19, 0x3ba10414
	v_fmac_f32_e32 v19, 0xba1345e1, v18
	v_fma_f32 v19, v18, v19, v6
	v_fma_f32 v19, v18, v19, v7
	;; [unrolled: 1-line block ×4, first 2 shown]
	v_fma_f32 v18, |v17|, v18, |v17|
	s_branch .LBB36_11
.LBB36_16:
	s_endpgm
	.section	.rodata,"a",@progbits
	.p2align	6, 0x0
	.amdhsa_kernel _ZN4vllm18act_and_mul_kernelIN3c104HalfE7__half2TnPFT_RKS4_EXadL_ZNS_11gelu_kernelIS2_EES4_S6_EETnPFT0_RKSA_EXadL_ZNS_18packed_gelu_kernelIS3_EES4_S6_EELb1ELb0ELb0ELb0EEEvPS4_PS5_if
		.amdhsa_group_segment_fixed_size 0
		.amdhsa_private_segment_fixed_size 0
		.amdhsa_kernarg_size 280
		.amdhsa_user_sgpr_count 6
		.amdhsa_user_sgpr_private_segment_buffer 1
		.amdhsa_user_sgpr_dispatch_ptr 0
		.amdhsa_user_sgpr_queue_ptr 0
		.amdhsa_user_sgpr_kernarg_segment_ptr 1
		.amdhsa_user_sgpr_dispatch_id 0
		.amdhsa_user_sgpr_flat_scratch_init 0
		.amdhsa_user_sgpr_kernarg_preload_length 0
		.amdhsa_user_sgpr_kernarg_preload_offset 0
		.amdhsa_user_sgpr_private_segment_size 0
		.amdhsa_uses_dynamic_stack 0
		.amdhsa_system_sgpr_private_segment_wavefront_offset 0
		.amdhsa_system_sgpr_workgroup_id_x 1
		.amdhsa_system_sgpr_workgroup_id_y 0
		.amdhsa_system_sgpr_workgroup_id_z 0
		.amdhsa_system_sgpr_workgroup_info 0
		.amdhsa_system_vgpr_workitem_id 0
		.amdhsa_next_free_vgpr 51
		.amdhsa_next_free_sgpr 50
		.amdhsa_accum_offset 52
		.amdhsa_reserve_vcc 1
		.amdhsa_reserve_flat_scratch 0
		.amdhsa_float_round_mode_32 0
		.amdhsa_float_round_mode_16_64 0
		.amdhsa_float_denorm_mode_32 3
		.amdhsa_float_denorm_mode_16_64 3
		.amdhsa_dx10_clamp 1
		.amdhsa_ieee_mode 1
		.amdhsa_fp16_overflow 0
		.amdhsa_tg_split 0
		.amdhsa_exception_fp_ieee_invalid_op 0
		.amdhsa_exception_fp_denorm_src 0
		.amdhsa_exception_fp_ieee_div_zero 0
		.amdhsa_exception_fp_ieee_overflow 0
		.amdhsa_exception_fp_ieee_underflow 0
		.amdhsa_exception_fp_ieee_inexact 0
		.amdhsa_exception_int_div_zero 0
	.end_amdhsa_kernel
	.section	.text._ZN4vllm18act_and_mul_kernelIN3c104HalfE7__half2TnPFT_RKS4_EXadL_ZNS_11gelu_kernelIS2_EES4_S6_EETnPFT0_RKSA_EXadL_ZNS_18packed_gelu_kernelIS3_EES4_S6_EELb1ELb0ELb0ELb0EEEvPS4_PS5_if,"axG",@progbits,_ZN4vllm18act_and_mul_kernelIN3c104HalfE7__half2TnPFT_RKS4_EXadL_ZNS_11gelu_kernelIS2_EES4_S6_EETnPFT0_RKSA_EXadL_ZNS_18packed_gelu_kernelIS3_EES4_S6_EELb1ELb0ELb0ELb0EEEvPS4_PS5_if,comdat
.Lfunc_end36:
	.size	_ZN4vllm18act_and_mul_kernelIN3c104HalfE7__half2TnPFT_RKS4_EXadL_ZNS_11gelu_kernelIS2_EES4_S6_EETnPFT0_RKSA_EXadL_ZNS_18packed_gelu_kernelIS3_EES4_S6_EELb1ELb0ELb0ELb0EEEvPS4_PS5_if, .Lfunc_end36-_ZN4vllm18act_and_mul_kernelIN3c104HalfE7__half2TnPFT_RKS4_EXadL_ZNS_11gelu_kernelIS2_EES4_S6_EETnPFT0_RKSA_EXadL_ZNS_18packed_gelu_kernelIS3_EES4_S6_EELb1ELb0ELb0ELb0EEEvPS4_PS5_if
                                        ; -- End function
	.section	.AMDGPU.csdata,"",@progbits
; Kernel info:
; codeLenInByte = 2684
; NumSgprs: 54
; NumVgprs: 51
; NumAgprs: 0
; TotalNumVgprs: 51
; ScratchSize: 0
; MemoryBound: 0
; FloatMode: 240
; IeeeMode: 1
; LDSByteSize: 0 bytes/workgroup (compile time only)
; SGPRBlocks: 6
; VGPRBlocks: 6
; NumSGPRsForWavesPerEU: 54
; NumVGPRsForWavesPerEU: 51
; AccumOffset: 52
; Occupancy: 8
; WaveLimiterHint : 0
; COMPUTE_PGM_RSRC2:SCRATCH_EN: 0
; COMPUTE_PGM_RSRC2:USER_SGPR: 6
; COMPUTE_PGM_RSRC2:TRAP_HANDLER: 0
; COMPUTE_PGM_RSRC2:TGID_X_EN: 1
; COMPUTE_PGM_RSRC2:TGID_Y_EN: 0
; COMPUTE_PGM_RSRC2:TGID_Z_EN: 0
; COMPUTE_PGM_RSRC2:TIDIG_COMP_CNT: 0
; COMPUTE_PGM_RSRC3_GFX90A:ACCUM_OFFSET: 12
; COMPUTE_PGM_RSRC3_GFX90A:TG_SPLIT: 0
	.section	.text._ZN4vllm18act_and_mul_kernelIN3c108BFloat16E15__hip_bfloat162TnPFT_RKS4_EXadL_ZNS_11gelu_kernelIS2_EES4_S6_EETnPFT0_RKSA_EXadL_ZNS_18packed_gelu_kernelIS3_EES4_S6_EELb1ELb0ELb0ELb0EEEvPS4_PS5_if,"axG",@progbits,_ZN4vllm18act_and_mul_kernelIN3c108BFloat16E15__hip_bfloat162TnPFT_RKS4_EXadL_ZNS_11gelu_kernelIS2_EES4_S6_EETnPFT0_RKSA_EXadL_ZNS_18packed_gelu_kernelIS3_EES4_S6_EELb1ELb0ELb0ELb0EEEvPS4_PS5_if,comdat
	.protected	_ZN4vllm18act_and_mul_kernelIN3c108BFloat16E15__hip_bfloat162TnPFT_RKS4_EXadL_ZNS_11gelu_kernelIS2_EES4_S6_EETnPFT0_RKSA_EXadL_ZNS_18packed_gelu_kernelIS3_EES4_S6_EELb1ELb0ELb0ELb0EEEvPS4_PS5_if ; -- Begin function _ZN4vllm18act_and_mul_kernelIN3c108BFloat16E15__hip_bfloat162TnPFT_RKS4_EXadL_ZNS_11gelu_kernelIS2_EES4_S6_EETnPFT0_RKSA_EXadL_ZNS_18packed_gelu_kernelIS3_EES4_S6_EELb1ELb0ELb0ELb0EEEvPS4_PS5_if
	.globl	_ZN4vllm18act_and_mul_kernelIN3c108BFloat16E15__hip_bfloat162TnPFT_RKS4_EXadL_ZNS_11gelu_kernelIS2_EES4_S6_EETnPFT0_RKSA_EXadL_ZNS_18packed_gelu_kernelIS3_EES4_S6_EELb1ELb0ELb0ELb0EEEvPS4_PS5_if
	.p2align	8
	.type	_ZN4vllm18act_and_mul_kernelIN3c108BFloat16E15__hip_bfloat162TnPFT_RKS4_EXadL_ZNS_11gelu_kernelIS2_EES4_S6_EETnPFT0_RKSA_EXadL_ZNS_18packed_gelu_kernelIS3_EES4_S6_EELb1ELb0ELb0ELb0EEEvPS4_PS5_if,@function
_ZN4vllm18act_and_mul_kernelIN3c108BFloat16E15__hip_bfloat162TnPFT_RKS4_EXadL_ZNS_11gelu_kernelIS2_EES4_S6_EETnPFT0_RKSA_EXadL_ZNS_18packed_gelu_kernelIS3_EES4_S6_EELb1ELb0ELb0ELb0EEEvPS4_PS5_if: ; @_ZN4vllm18act_and_mul_kernelIN3c108BFloat16E15__hip_bfloat162TnPFT_RKS4_EXadL_ZNS_11gelu_kernelIS2_EES4_S6_EETnPFT0_RKSA_EXadL_ZNS_18packed_gelu_kernelIS3_EES4_S6_EELb1ELb0ELb0ELb0EEEvPS4_PS5_if
; %bb.0:
	s_load_dword s12, s[4:5], 0x10
	s_waitcnt lgkmcnt(0)
	v_cmp_gt_i32_e32 vcc, s12, v0
	s_and_saveexec_b64 s[0:1], vcc
	s_cbranch_execz .LBB37_16
; %bb.1:
	s_load_dword s0, s[4:5], 0x24
	s_ashr_i32 s13, s12, 31
	v_mov_b32_e32 v2, s13
	v_mov_b32_e32 v1, 0
	s_mov_b32 s23, 0
	s_waitcnt lgkmcnt(0)
	s_and_b32 s21, s0, 0xffff
	v_add_co_u32_e32 v4, vcc, s21, v0
	v_addc_co_u32_e64 v5, s[0:1], 0, 0, vcc
	v_cmp_lt_i64_e32 vcc, s[12:13], v[4:5]
	v_cndmask_b32_e32 v6, v2, v5, vcc
	v_mov_b32_e32 v2, s12
	v_cndmask_b32_e32 v3, v2, v4, vcc
	v_cmp_gt_i64_e32 vcc, s[12:13], v[4:5]
	v_cndmask_b32_e64 v2, 0, 1, vcc
	v_add_co_u32_e32 v4, vcc, v4, v2
	v_addc_co_u32_e32 v5, vcc, 0, v5, vcc
	v_sub_co_u32_e32 v3, vcc, v3, v4
	v_subb_co_u32_e32 v5, vcc, v6, v5, vcc
	v_mov_b32_e32 v4, v1
	v_cmp_ne_u64_e32 vcc, 0, v[4:5]
                                        ; implicit-def: $vgpr6_vgpr7
	s_and_saveexec_b64 s[0:1], vcc
	s_xor_b64 s[2:3], exec, s[0:1]
	s_cbranch_execz .LBB37_3
; %bb.2:
	v_cvt_f32_u32_e32 v4, s21
	v_mov_b32_e32 v6, 0x4f800000
	s_sub_u32 s0, 0, s21
	s_subb_u32 s1, 0, 0
	v_mac_f32_e32 v4, 0, v6
	v_rcp_f32_e32 v4, v4
	v_mul_f32_e32 v4, 0x5f7ffffc, v4
	v_mul_f32_e32 v6, 0x2f800000, v4
	v_trunc_f32_e32 v6, v6
	v_madmk_f32 v4, v6, 0xcf800000, v4
	v_cvt_u32_f32_e32 v6, v6
	v_cvt_u32_f32_e32 v4, v4
	v_mul_lo_u32 v7, s0, v6
	v_mul_hi_u32 v9, s0, v4
	v_mul_lo_u32 v8, s1, v4
	v_add_u32_e32 v7, v9, v7
	v_mul_lo_u32 v10, s0, v4
	v_add_u32_e32 v7, v7, v8
	v_mul_hi_u32 v9, v4, v10
	v_mul_lo_u32 v11, v4, v7
	v_mul_hi_u32 v8, v4, v7
	v_add_co_u32_e32 v9, vcc, v9, v11
	v_addc_co_u32_e32 v8, vcc, 0, v8, vcc
	v_mul_hi_u32 v12, v6, v10
	v_mul_lo_u32 v10, v6, v10
	v_add_co_u32_e32 v9, vcc, v9, v10
	v_mul_hi_u32 v11, v6, v7
	v_addc_co_u32_e32 v8, vcc, v8, v12, vcc
	v_addc_co_u32_e32 v9, vcc, 0, v11, vcc
	v_mul_lo_u32 v7, v6, v7
	v_add_co_u32_e32 v7, vcc, v8, v7
	v_addc_co_u32_e32 v8, vcc, 0, v9, vcc
	v_add_co_u32_e32 v4, vcc, v4, v7
	v_addc_co_u32_e32 v6, vcc, v6, v8, vcc
	v_mul_lo_u32 v7, s0, v6
	v_mul_hi_u32 v8, s0, v4
	v_add_u32_e32 v7, v8, v7
	v_mul_lo_u32 v8, s1, v4
	v_add_u32_e32 v7, v7, v8
	v_mul_lo_u32 v9, s0, v4
	v_mul_hi_u32 v10, v6, v9
	v_mul_lo_u32 v11, v6, v9
	v_mul_lo_u32 v13, v4, v7
	v_mul_hi_u32 v9, v4, v9
	v_mul_hi_u32 v12, v4, v7
	v_add_co_u32_e32 v9, vcc, v9, v13
	v_addc_co_u32_e32 v12, vcc, 0, v12, vcc
	v_add_co_u32_e32 v9, vcc, v9, v11
	v_mul_hi_u32 v8, v6, v7
	v_addc_co_u32_e32 v9, vcc, v12, v10, vcc
	v_addc_co_u32_e32 v8, vcc, 0, v8, vcc
	v_mul_lo_u32 v7, v6, v7
	v_add_co_u32_e32 v7, vcc, v9, v7
	v_addc_co_u32_e32 v8, vcc, 0, v8, vcc
	v_add_co_u32_e32 v4, vcc, v4, v7
	v_addc_co_u32_e32 v8, vcc, v6, v8, vcc
	v_mad_u64_u32 v[6:7], s[0:1], v3, v8, 0
	v_mul_hi_u32 v9, v3, v4
	v_add_co_u32_e32 v10, vcc, v9, v6
	v_addc_co_u32_e32 v11, vcc, 0, v7, vcc
	v_mad_u64_u32 v[6:7], s[0:1], v5, v8, 0
	v_mad_u64_u32 v[8:9], s[0:1], v5, v4, 0
	v_add_co_u32_e32 v4, vcc, v10, v8
	v_addc_co_u32_e32 v4, vcc, v11, v9, vcc
	v_addc_co_u32_e32 v7, vcc, 0, v7, vcc
	v_add_co_u32_e32 v10, vcc, v4, v6
	v_addc_co_u32_e32 v11, vcc, 0, v7, vcc
	v_mad_u64_u32 v[6:7], s[0:1], s21, v10, 0
	v_mov_b32_e32 v4, v7
	v_mad_u64_u32 v[8:9], s[0:1], s21, v11, v[4:5]
	v_sub_co_u32_e32 v3, vcc, v3, v6
	v_subb_co_u32_e32 v4, vcc, v5, v8, vcc
	v_subrev_co_u32_e32 v5, vcc, s21, v3
	v_subbrev_co_u32_e32 v6, vcc, 0, v4, vcc
	v_cmp_le_u32_e32 vcc, s21, v5
	v_cndmask_b32_e64 v5, 0, -1, vcc
	v_cmp_eq_u32_e32 vcc, 0, v6
	v_cndmask_b32_e32 v5, -1, v5, vcc
	v_add_co_u32_e32 v6, vcc, 2, v10
	v_addc_co_u32_e32 v7, vcc, 0, v11, vcc
	v_add_co_u32_e32 v8, vcc, 1, v10
	v_cmp_le_u32_e64 s[0:1], s21, v3
	v_addc_co_u32_e32 v9, vcc, 0, v11, vcc
	v_cndmask_b32_e64 v3, 0, -1, s[0:1]
	v_cmp_eq_u32_e64 s[0:1], 0, v4
	v_cmp_ne_u32_e32 vcc, 0, v5
	v_cndmask_b32_e64 v3, -1, v3, s[0:1]
	v_cndmask_b32_e32 v5, v9, v7, vcc
	v_cmp_ne_u32_e64 s[0:1], 0, v3
	v_cndmask_b32_e32 v3, v8, v6, vcc
	v_cndmask_b32_e64 v7, v11, v5, s[0:1]
	v_cndmask_b32_e64 v6, v10, v3, s[0:1]
                                        ; implicit-def: $vgpr3
.LBB37_3:
	s_or_saveexec_b64 s[0:1], s[2:3]
	s_load_dwordx4 s[8:11], s[4:5], 0x0
	s_xor_b64 exec, exec, s[0:1]
	s_cbranch_execz .LBB37_5
; %bb.4:
	v_cvt_f32_u32_e32 v4, s21
	s_sub_i32 s2, 0, s21
	v_mov_b32_e32 v7, 0
	v_rcp_iflag_f32_e32 v4, v4
	v_mul_f32_e32 v4, 0x4f7ffffe, v4
	v_cvt_u32_f32_e32 v4, v4
	v_mul_lo_u32 v5, s2, v4
	v_mul_hi_u32 v5, v4, v5
	v_add_u32_e32 v4, v4, v5
	v_mul_hi_u32 v4, v3, v4
	v_mul_lo_u32 v5, v4, s21
	v_sub_u32_e32 v3, v3, v5
	v_add_u32_e32 v6, 1, v4
	v_subrev_u32_e32 v5, s21, v3
	v_cmp_le_u32_e32 vcc, s21, v3
	v_cndmask_b32_e32 v3, v3, v5, vcc
	v_cndmask_b32_e32 v4, v4, v6, vcc
	v_add_u32_e32 v5, 1, v4
	v_cmp_le_u32_e32 vcc, s21, v3
	v_cndmask_b32_e32 v6, v4, v5, vcc
.LBB37_5:
	s_or_b64 exec, exec, s[0:1]
	v_add_co_u32_e32 v2, vcc, v6, v2
	v_addc_co_u32_e32 v3, vcc, 0, v7, vcc
	v_add_co_u32_e32 v2, vcc, 1, v2
	v_addc_co_u32_e32 v3, vcc, 0, v3, vcc
	s_mul_i32 s6, s6, s12
	s_mov_b32 s15, 0
	v_cmp_lt_u64_e32 vcc, 3, v[2:3]
	v_cmp_eq_u16_e64 s[0:1], s21, 1
	s_lshl_b32 s14, s6, 1
	s_mov_b32 s7, s15
	s_and_b64 s[2:3], vcc, s[0:1]
	s_mov_b64 s[0:1], -1
	s_and_saveexec_b64 s[16:17], s[2:3]
	s_cbranch_execz .LBB37_9
; %bb.6:
	s_lshl_b64 s[0:1], s[14:15], 1
	s_waitcnt lgkmcnt(0)
	s_add_u32 s0, s10, s0
	v_lshlrev_b32_e32 v6, 1, v0
	s_addc_u32 s1, s11, s1
	v_mov_b32_e32 v7, s1
	v_add_co_u32_e32 v18, vcc, s0, v6
	v_addc_co_u32_e32 v19, vcc, 0, v7, vcc
	s_lshl_b64 s[0:1], s[12:13], 1
	s_lshl_b32 s25, s21, 3
	v_mov_b32_e32 v7, s1
	v_add_co_u32_e32 v20, vcc, s0, v18
	s_lshl_b64 s[0:1], s[6:7], 1
	s_add_u32 s0, s8, s0
	v_addc_co_u32_e32 v21, vcc, v19, v7, vcc
	s_addc_u32 s1, s9, s1
	v_mov_b32_e32 v7, s1
	v_add_co_u32_e32 v22, vcc, s0, v6
	s_mov_b32 s0, 0xb9c68948
	v_and_b32_e32 v4, -4, v2
	v_mov_b32_e32 v5, v3
	v_addc_co_u32_e32 v23, vcc, 0, v7, vcc
	v_pk_mov_b32 v[6:7], s[0:1], s[0:1] op_sel:[0,1]
	s_mov_b32 s0, 0x3ba10414
	s_mov_b64 s[18:19], 0
	s_mov_b32 s20, 0x3f3504f3
	s_brev_b32 s27, -2
	s_mov_b32 s22, 0x378e98ab
	s_mov_b32 s24, 0x3b7cd369
	;; [unrolled: 1-line block ×9, first 2 shown]
	v_mov_b32_e32 v24, 0x7f800000
	s_mov_b32 s36, 0xba1345e1
	v_pk_mov_b32 v[8:9], s[0:1], s[0:1] op_sel:[0,1]
	s_mov_b32 s38, 0xbcdac9b8
	s_mov_b32 s40, 0x3de703be
	;; [unrolled: 1-line block ×4, first 2 shown]
	s_movk_i32 s35, 0x7fff
	v_mov_b32_e32 v25, 0x7fc00000
	v_mov_b32_e32 v26, 0x7fc0
	s_mov_b32 s37, 0x5040100
	s_mov_b64 s[46:47], 0
	v_pk_mov_b32 v[10:11], v[4:5], v[4:5] op_sel:[0,1]
.LBB37_7:                               ; =>This Inner Loop Header: Depth=1
	v_add_co_u32_e64 v10, s[2:3], -4, v10
	v_addc_co_u32_e64 v11, s[2:3], -1, v11, s[2:3]
	v_mov_b32_e32 v15, s47
	v_add_co_u32_e64 v16, s[2:3], s46, v18
	v_add_co_u32_e32 v12, vcc, s46, v20
	v_addc_co_u32_e64 v17, s[2:3], v19, v15, s[2:3]
	v_addc_co_u32_e32 v13, vcc, v21, v15, vcc
	global_load_dwordx2 v[28:29], v[16:17], off
	global_load_dwordx2 v[30:31], v[12:13], off
	v_add_co_u32_e64 v14, s[0:1], s46, v22
	s_add_u32 s46, s46, s25
	v_addc_co_u32_e64 v15, vcc, v23, v15, s[0:1]
	s_addc_u32 s47, s47, 0
	v_cmp_eq_u64_e32 vcc, 0, v[10:11]
	s_or_b64 s[18:19], vcc, s[18:19]
	s_waitcnt vmcnt(1)
	v_and_b32_e32 v33, 0xffff0000, v29
	v_lshlrev_b32_e32 v32, 16, v29
	v_and_b32_e32 v29, 0xffff0000, v28
	v_lshlrev_b32_e32 v28, 16, v28
	s_waitcnt vmcnt(0)
	v_and_b32_e32 v13, 0xffff0000, v31
	v_lshlrev_b32_e32 v12, 16, v31
	v_and_b32_e32 v17, 0xffff0000, v30
	v_lshlrev_b32_e32 v16, 16, v30
	v_pk_mul_f32 v[30:31], v[28:29], s[20:21] op_sel_hi:[1,0]
	v_pk_mul_f32 v[34:35], v[32:33], s[20:21] op_sel_hi:[1,0]
	v_and_b32_e32 v37, 0x7fffffff, v35
	v_and_b32_e32 v36, 0x7fffffff, v34
	;; [unrolled: 1-line block ×4, first 2 shown]
	v_pk_mul_f32 v[40:41], v[30:31], v[30:31]
	v_pk_mul_f32 v[42:43], v[34:35], v[34:35]
	v_pk_fma_f32 v[44:45], v[36:37], s[22:23], v[6:7] op_sel_hi:[1,0,0]
	v_pk_fma_f32 v[46:47], v[38:39], s[22:23], v[6:7] op_sel_hi:[1,0,0]
	;; [unrolled: 1-line block ×22, first 2 shown]
	v_pk_fma_f32 v[40:41], v[38:39], v[40:41], v[38:39]
	v_pk_fma_f32 v[42:43], v[36:37], v[42:43], v[36:37]
	;; [unrolled: 1-line block ×4, first 2 shown]
	v_mul_f32_e32 v27, 0xbfb8aa3b, v36
	v_mul_f32_e32 v44, 0xbfb8aa3b, v37
	;; [unrolled: 1-line block ×4, first 2 shown]
	v_fma_f32 v47, v36, s29, -v27
	v_rndne_f32_e32 v48, v27
	v_fma_f32 v49, v37, s29, -v44
	v_rndne_f32_e32 v50, v44
	;; [unrolled: 2-line block ×4, first 2 shown]
	v_fmac_f32_e32 v47, 0xb2a5705f, v36
	v_sub_f32_e32 v27, v27, v48
	v_fmac_f32_e32 v49, 0xb2a5705f, v37
	v_sub_f32_e32 v44, v44, v50
	;; [unrolled: 2-line block ×4, first 2 shown]
	v_add_f32_e32 v27, v27, v47
	v_add_f32_e32 v44, v44, v49
	;; [unrolled: 1-line block ×4, first 2 shown]
	v_cvt_i32_f32_e32 v48, v48
	v_cvt_i32_f32_e32 v50, v50
	;; [unrolled: 1-line block ×4, first 2 shown]
	v_exp_f32_e32 v27, v27
	v_exp_f32_e32 v44, v44
	;; [unrolled: 1-line block ×4, first 2 shown]
	v_ldexp_f32 v27, v27, v48
	v_ldexp_f32 v44, v44, v50
	v_cmp_nlt_f32_e32 vcc, s31, v37
	v_ldexp_f32 v45, v45, v52
	v_cmp_nlt_f32_e64 s[0:1], s31, v38
	v_ldexp_f32 v46, v46, v54
	v_cmp_nlt_f32_e64 s[2:3], s31, v39
	v_cmp_nlt_f32_e64 s[4:5], s31, v36
	v_cndmask_b32_e64 v27, 0, v27, s[4:5]
	v_cndmask_b32_e32 v44, 0, v44, vcc
	v_cmp_ngt_f32_e32 vcc, s33, v37
	v_cndmask_b32_e64 v37, 0, v45, s[0:1]
	v_cmp_ngt_f32_e64 s[0:1], s33, v38
	v_cndmask_b32_e64 v38, 0, v46, s[2:3]
	v_cmp_ngt_f32_e64 s[2:3], s33, v39
	v_cmp_ngt_f32_e64 s[4:5], s33, v36
	v_cndmask_b32_e64 v27, v24, v27, s[4:5]
	v_cndmask_b32_e32 v36, v24, v44, vcc
	v_cndmask_b32_e64 v37, v24, v37, s[0:1]
	v_cndmask_b32_e64 v38, v24, v38, s[2:3]
	v_sub_f32_e32 v38, 1.0, v38
	v_cmp_nlt_f32_e64 vcc, |v31|, 1.0
	v_sub_f32_e32 v37, 1.0, v37
	v_cmp_nlt_f32_e64 s[0:1], |v30|, 1.0
	v_sub_f32_e32 v36, 1.0, v36
	v_cmp_nlt_f32_e64 s[2:3], |v35|, 1.0
	;; [unrolled: 2-line block ×3, first 2 shown]
	v_cndmask_b32_e64 v27, v42, v27, s[4:5]
	v_cndmask_b32_e64 v36, v43, v36, s[2:3]
	;; [unrolled: 1-line block ×3, first 2 shown]
	v_cndmask_b32_e32 v38, v41, v38, vcc
	v_bfi_b32 v31, s27, v38, v31
	v_bfi_b32 v30, s27, v37, v30
	;; [unrolled: 1-line block ×4, first 2 shown]
	v_pk_mul_f32 v[32:33], v[32:33], 0.5 op_sel_hi:[1,0]
	v_pk_mul_f32 v[28:29], v[28:29], 0.5 op_sel_hi:[1,0]
	v_pk_add_f32 v[34:35], v[34:35], 1.0 op_sel_hi:[1,0]
	v_pk_add_f32 v[30:31], v[30:31], 1.0 op_sel_hi:[1,0]
	v_pk_mul_f32 v[28:29], v[28:29], v[30:31]
	v_pk_mul_f32 v[30:31], v[32:33], v[34:35]
	v_bfe_u32 v27, v28, 16, 1
	v_bfe_u32 v32, v29, 16, 1
	;; [unrolled: 1-line block ×4, first 2 shown]
	v_add3_u32 v34, v31, v34, s35
	v_add3_u32 v33, v30, v33, s35
	;; [unrolled: 1-line block ×4, first 2 shown]
	v_and_b32_e32 v27, 0xffff0000, v27
	v_and_b32_e32 v32, 0xffff0000, v32
	;; [unrolled: 1-line block ×4, first 2 shown]
	v_cmp_o_f32_e32 vcc, v30, v30
	v_cmp_o_f32_e64 s[0:1], v29, v29
	v_cmp_o_f32_e64 s[2:3], v28, v28
	;; [unrolled: 1-line block ×3, first 2 shown]
	v_cndmask_b32_e64 v29, v25, v34, s[4:5]
	v_cndmask_b32_e32 v28, v25, v33, vcc
	v_cndmask_b32_e64 v31, v25, v32, s[0:1]
	v_cndmask_b32_e64 v30, v25, v27, s[2:3]
	v_pk_mul_f32 v[16:17], v[30:31], v[16:17]
	v_pk_mul_f32 v[12:13], v[28:29], v[12:13]
	v_bfe_u32 v27, v16, 16, 1
	v_bfe_u32 v28, v17, 16, 1
	v_bfe_u32 v29, v12, 16, 1
	v_bfe_u32 v30, v13, 16, 1
	v_add3_u32 v30, v13, v30, s35
	v_add3_u32 v29, v12, v29, s35
	;; [unrolled: 1-line block ×4, first 2 shown]
	v_lshrrev_b32_e32 v27, 16, v27
	v_lshrrev_b32_e32 v28, 16, v28
	;; [unrolled: 1-line block ×4, first 2 shown]
	v_cmp_o_f32_e32 vcc, v17, v17
	v_cmp_o_f32_e64 s[0:1], v12, v12
	v_cmp_o_f32_e64 s[2:3], v13, v13
	;; [unrolled: 1-line block ×3, first 2 shown]
	v_cndmask_b32_e64 v12, v26, v27, s[4:5]
	v_cndmask_b32_e32 v13, v26, v28, vcc
	v_cndmask_b32_e64 v16, v26, v29, s[0:1]
	v_cndmask_b32_e64 v17, v26, v30, s[2:3]
	v_perm_b32 v12, v13, v12, s37
	v_perm_b32 v13, v17, v16, s37
	global_store_dwordx2 v[14:15], v[12:13], off
	s_andn2_b64 exec, exec, s[18:19]
	s_cbranch_execnz .LBB37_7
; %bb.8:
	s_or_b64 exec, exec, s[18:19]
	v_mad_u64_u32 v[0:1], s[0:1], v4, s21, v[0:1]
	v_mov_b32_e32 v6, v1
	v_mad_u64_u32 v[6:7], s[0:1], v5, s21, v[6:7]
	v_cmp_ne_u64_e32 vcc, v[2:3], v[4:5]
	v_mov_b32_e32 v1, v6
	s_orn2_b64 s[0:1], vcc, exec
.LBB37_9:
	s_or_b64 exec, exec, s[16:17]
	s_and_b64 exec, exec, s[0:1]
	s_cbranch_execz .LBB37_16
; %bb.10:
	s_lshl_b64 s[0:1], s[14:15], 1
	s_waitcnt lgkmcnt(0)
	s_add_u32 s4, s10, s0
	s_addc_u32 s2, s11, s1
	s_lshl_b64 s[0:1], s[12:13], 1
	s_add_u32 s5, s4, s0
	s_addc_u32 s3, s2, s1
	s_lshl_b64 s[0:1], s[6:7], 1
	s_add_u32 s6, s8, s0
	s_addc_u32 s22, s9, s1
	s_mov_b32 s24, 0
	v_lshlrev_b64 v[2:3], 1, v[0:1]
	s_lshl_b32 s7, s21, 1
	s_mov_b64 s[0:1], 0
	v_mov_b32_e32 v4, s2
	v_mov_b32_e32 v5, s3
	s_mov_b32 s8, 0x378e98ab
	s_mov_b32 s9, 0x3b7cd369
	;; [unrolled: 1-line block ×9, first 2 shown]
	v_mov_b32_e32 v6, 0xbcdac9b8
	v_mov_b32_e32 v7, 0x3de703be
	;; [unrolled: 1-line block ×4, first 2 shown]
	s_brev_b32 s19, -2
	s_movk_i32 s20, 0x7fff
	v_mov_b32_e32 v10, 0x7fc00000
	v_mov_b32_e32 v11, 0x7fc0
	;; [unrolled: 1-line block ×7, first 2 shown]
	s_branch .LBB37_12
.LBB37_11:                              ;   in Loop: Header=BB37_12 Depth=1
	s_or_b64 exec, exec, s[2:3]
	v_bfi_b32 v19, s19, v20, v19
	v_mul_f32_e32 v18, 0.5, v18
	v_add_f32_e32 v19, 1.0, v19
	v_mul_f32_e32 v18, v18, v19
	v_bfe_u32 v19, v18, 16, 1
	v_add3_u32 v19, v18, v19, s20
	v_and_b32_e32 v19, 0xffff0000, v19
	v_cmp_o_f32_e32 vcc, v18, v18
	v_cndmask_b32_e32 v18, v10, v19, vcc
	s_waitcnt vmcnt(0)
	v_lshlrev_b32_e32 v17, 16, v17
	v_mul_f32_e32 v17, v18, v17
	v_bfe_u32 v18, v17, 16, 1
	v_add3_u32 v18, v17, v18, s20
	v_lshrrev_b32_e32 v18, 16, v18
	v_cmp_o_f32_e32 vcc, v17, v17
	v_cndmask_b32_e32 v17, v11, v18, vcc
	v_add_co_u32_e32 v18, vcc, s6, v2
	v_addc_co_u32_e32 v19, vcc, v12, v3, vcc
	v_add_co_u32_e32 v0, vcc, s21, v0
	v_addc_co_u32_e32 v1, vcc, v1, v13, vcc
	v_cmp_le_i64_e32 vcc, s[12:13], v[0:1]
	s_or_b64 s[0:1], vcc, s[0:1]
	v_add_co_u32_e32 v2, vcc, s7, v2
	v_addc_co_u32_e32 v3, vcc, v3, v14, vcc
	global_store_short v[18:19], v17, off
	s_andn2_b64 exec, exec, s[0:1]
	s_cbranch_execz .LBB37_16
.LBB37_12:                              ; =>This Inner Loop Header: Depth=1
	v_add_co_u32_e32 v18, vcc, s4, v2
	v_addc_co_u32_e32 v19, vcc, v4, v3, vcc
	global_load_ushort v20, v[18:19], off
	v_add_co_u32_e32 v18, vcc, s5, v2
	v_addc_co_u32_e32 v19, vcc, v5, v3, vcc
	global_load_ushort v17, v[18:19], off
	s_waitcnt vmcnt(1)
	v_lshlrev_b32_e32 v18, 16, v20
	v_mul_f32_e32 v19, 0x3f3504f3, v18
	v_cmp_nlt_f32_e64 s[2:3], |v19|, 1.0
                                        ; implicit-def: $vgpr20
	s_and_saveexec_b64 s[22:23], s[2:3]
	s_xor_b64 s[2:3], exec, s[22:23]
	s_cbranch_execz .LBB37_14
; %bb.13:                               ;   in Loop: Header=BB37_12 Depth=1
	v_fma_f32 v20, |v19|, s8, v15
	v_fma_f32 v20, |v19|, v20, s9
	;; [unrolled: 1-line block ×6, first 2 shown]
	v_fma_f32 v20, |v19|, v20, |v19|
	v_mul_f32_e32 v21, 0xbfb8aa3b, v20
	v_fma_f32 v22, v20, s16, -v21
	v_rndne_f32_e32 v23, v21
	v_fmac_f32_e32 v22, 0xb2a5705f, v20
	v_sub_f32_e32 v21, v21, v23
	v_add_f32_e32 v21, v21, v22
	v_cvt_i32_f32_e32 v22, v23
	v_exp_f32_e32 v21, v21
	v_cmp_nlt_f32_e32 vcc, s17, v20
	v_ldexp_f32 v21, v21, v22
	v_cndmask_b32_e32 v21, 0, v21, vcc
	v_cmp_ngt_f32_e32 vcc, s18, v20
	v_cndmask_b32_e32 v20, v16, v21, vcc
	v_sub_f32_e32 v20, 1.0, v20
.LBB37_14:                              ;   in Loop: Header=BB37_12 Depth=1
	s_andn2_saveexec_b64 s[2:3], s[2:3]
	s_cbranch_execz .LBB37_11
; %bb.15:                               ;   in Loop: Header=BB37_12 Depth=1
	v_mul_f32_e32 v20, v19, v19
	v_mov_b32_e32 v21, 0x3ba10414
	v_fmac_f32_e32 v21, 0xba1345e1, v20
	v_fma_f32 v21, v20, v21, v6
	v_fma_f32 v21, v20, v21, v7
	;; [unrolled: 1-line block ×4, first 2 shown]
	v_fma_f32 v20, |v19|, v20, |v19|
	s_branch .LBB37_11
.LBB37_16:
	s_endpgm
	.section	.rodata,"a",@progbits
	.p2align	6, 0x0
	.amdhsa_kernel _ZN4vllm18act_and_mul_kernelIN3c108BFloat16E15__hip_bfloat162TnPFT_RKS4_EXadL_ZNS_11gelu_kernelIS2_EES4_S6_EETnPFT0_RKSA_EXadL_ZNS_18packed_gelu_kernelIS3_EES4_S6_EELb1ELb0ELb0ELb0EEEvPS4_PS5_if
		.amdhsa_group_segment_fixed_size 0
		.amdhsa_private_segment_fixed_size 0
		.amdhsa_kernarg_size 280
		.amdhsa_user_sgpr_count 6
		.amdhsa_user_sgpr_private_segment_buffer 1
		.amdhsa_user_sgpr_dispatch_ptr 0
		.amdhsa_user_sgpr_queue_ptr 0
		.amdhsa_user_sgpr_kernarg_segment_ptr 1
		.amdhsa_user_sgpr_dispatch_id 0
		.amdhsa_user_sgpr_flat_scratch_init 0
		.amdhsa_user_sgpr_kernarg_preload_length 0
		.amdhsa_user_sgpr_kernarg_preload_offset 0
		.amdhsa_user_sgpr_private_segment_size 0
		.amdhsa_uses_dynamic_stack 0
		.amdhsa_system_sgpr_private_segment_wavefront_offset 0
		.amdhsa_system_sgpr_workgroup_id_x 1
		.amdhsa_system_sgpr_workgroup_id_y 0
		.amdhsa_system_sgpr_workgroup_id_z 0
		.amdhsa_system_sgpr_workgroup_info 0
		.amdhsa_system_vgpr_workitem_id 0
		.amdhsa_next_free_vgpr 55
		.amdhsa_next_free_sgpr 48
		.amdhsa_accum_offset 56
		.amdhsa_reserve_vcc 1
		.amdhsa_reserve_flat_scratch 0
		.amdhsa_float_round_mode_32 0
		.amdhsa_float_round_mode_16_64 0
		.amdhsa_float_denorm_mode_32 3
		.amdhsa_float_denorm_mode_16_64 3
		.amdhsa_dx10_clamp 1
		.amdhsa_ieee_mode 1
		.amdhsa_fp16_overflow 0
		.amdhsa_tg_split 0
		.amdhsa_exception_fp_ieee_invalid_op 0
		.amdhsa_exception_fp_denorm_src 0
		.amdhsa_exception_fp_ieee_div_zero 0
		.amdhsa_exception_fp_ieee_overflow 0
		.amdhsa_exception_fp_ieee_underflow 0
		.amdhsa_exception_fp_ieee_inexact 0
		.amdhsa_exception_int_div_zero 0
	.end_amdhsa_kernel
	.section	.text._ZN4vllm18act_and_mul_kernelIN3c108BFloat16E15__hip_bfloat162TnPFT_RKS4_EXadL_ZNS_11gelu_kernelIS2_EES4_S6_EETnPFT0_RKSA_EXadL_ZNS_18packed_gelu_kernelIS3_EES4_S6_EELb1ELb0ELb0ELb0EEEvPS4_PS5_if,"axG",@progbits,_ZN4vllm18act_and_mul_kernelIN3c108BFloat16E15__hip_bfloat162TnPFT_RKS4_EXadL_ZNS_11gelu_kernelIS2_EES4_S6_EETnPFT0_RKSA_EXadL_ZNS_18packed_gelu_kernelIS3_EES4_S6_EELb1ELb0ELb0ELb0EEEvPS4_PS5_if,comdat
.Lfunc_end37:
	.size	_ZN4vllm18act_and_mul_kernelIN3c108BFloat16E15__hip_bfloat162TnPFT_RKS4_EXadL_ZNS_11gelu_kernelIS2_EES4_S6_EETnPFT0_RKSA_EXadL_ZNS_18packed_gelu_kernelIS3_EES4_S6_EELb1ELb0ELb0ELb0EEEvPS4_PS5_if, .Lfunc_end37-_ZN4vllm18act_and_mul_kernelIN3c108BFloat16E15__hip_bfloat162TnPFT_RKS4_EXadL_ZNS_11gelu_kernelIS2_EES4_S6_EETnPFT0_RKSA_EXadL_ZNS_18packed_gelu_kernelIS3_EES4_S6_EELb1ELb0ELb0ELb0EEEvPS4_PS5_if
                                        ; -- End function
	.section	.AMDGPU.csdata,"",@progbits
; Kernel info:
; codeLenInByte = 3068
; NumSgprs: 52
; NumVgprs: 55
; NumAgprs: 0
; TotalNumVgprs: 55
; ScratchSize: 0
; MemoryBound: 0
; FloatMode: 240
; IeeeMode: 1
; LDSByteSize: 0 bytes/workgroup (compile time only)
; SGPRBlocks: 6
; VGPRBlocks: 6
; NumSGPRsForWavesPerEU: 52
; NumVGPRsForWavesPerEU: 55
; AccumOffset: 56
; Occupancy: 8
; WaveLimiterHint : 0
; COMPUTE_PGM_RSRC2:SCRATCH_EN: 0
; COMPUTE_PGM_RSRC2:USER_SGPR: 6
; COMPUTE_PGM_RSRC2:TRAP_HANDLER: 0
; COMPUTE_PGM_RSRC2:TGID_X_EN: 1
; COMPUTE_PGM_RSRC2:TGID_Y_EN: 0
; COMPUTE_PGM_RSRC2:TGID_Z_EN: 0
; COMPUTE_PGM_RSRC2:TIDIG_COMP_CNT: 0
; COMPUTE_PGM_RSRC3_GFX90A:ACCUM_OFFSET: 13
; COMPUTE_PGM_RSRC3_GFX90A:TG_SPLIT: 0
	.section	.text._ZN4vllm18act_and_mul_kernelIf15HIP_vector_typeIfLj2EETnPFT_RKS3_EXadL_ZNS_16gelu_tanh_kernelIfEES3_S5_EETnPFT0_RKS9_EXadL_ZNS_23packed_gelu_tanh_kernelIS2_EES3_S5_EELb1ELb1ELb0ELb1EEEvPS3_PS4_if,"axG",@progbits,_ZN4vllm18act_and_mul_kernelIf15HIP_vector_typeIfLj2EETnPFT_RKS3_EXadL_ZNS_16gelu_tanh_kernelIfEES3_S5_EETnPFT0_RKS9_EXadL_ZNS_23packed_gelu_tanh_kernelIS2_EES3_S5_EELb1ELb1ELb0ELb1EEEvPS3_PS4_if,comdat
	.protected	_ZN4vllm18act_and_mul_kernelIf15HIP_vector_typeIfLj2EETnPFT_RKS3_EXadL_ZNS_16gelu_tanh_kernelIfEES3_S5_EETnPFT0_RKS9_EXadL_ZNS_23packed_gelu_tanh_kernelIS2_EES3_S5_EELb1ELb1ELb0ELb1EEEvPS3_PS4_if ; -- Begin function _ZN4vllm18act_and_mul_kernelIf15HIP_vector_typeIfLj2EETnPFT_RKS3_EXadL_ZNS_16gelu_tanh_kernelIfEES3_S5_EETnPFT0_RKS9_EXadL_ZNS_23packed_gelu_tanh_kernelIS2_EES3_S5_EELb1ELb1ELb0ELb1EEEvPS3_PS4_if
	.globl	_ZN4vllm18act_and_mul_kernelIf15HIP_vector_typeIfLj2EETnPFT_RKS3_EXadL_ZNS_16gelu_tanh_kernelIfEES3_S5_EETnPFT0_RKS9_EXadL_ZNS_23packed_gelu_tanh_kernelIS2_EES3_S5_EELb1ELb1ELb0ELb1EEEvPS3_PS4_if
	.p2align	8
	.type	_ZN4vllm18act_and_mul_kernelIf15HIP_vector_typeIfLj2EETnPFT_RKS3_EXadL_ZNS_16gelu_tanh_kernelIfEES3_S5_EETnPFT0_RKS9_EXadL_ZNS_23packed_gelu_tanh_kernelIS2_EES3_S5_EELb1ELb1ELb0ELb1EEEvPS3_PS4_if,@function
_ZN4vllm18act_and_mul_kernelIf15HIP_vector_typeIfLj2EETnPFT_RKS3_EXadL_ZNS_16gelu_tanh_kernelIfEES3_S5_EETnPFT0_RKS9_EXadL_ZNS_23packed_gelu_tanh_kernelIS2_EES3_S5_EELb1ELb1ELb0ELb1EEEvPS3_PS4_if: ; @_ZN4vllm18act_and_mul_kernelIf15HIP_vector_typeIfLj2EETnPFT_RKS3_EXadL_ZNS_16gelu_tanh_kernelIfEES3_S5_EETnPFT0_RKS9_EXadL_ZNS_23packed_gelu_tanh_kernelIS2_EES3_S5_EELb1ELb1ELb0ELb1EEEvPS3_PS4_if
; %bb.0:
	s_add_u32 flat_scratch_lo, s6, s9
	s_load_dword s6, s[4:5], 0x10
	s_addc_u32 flat_scratch_hi, s7, 0
	s_add_u32 s0, s0, s9
	s_addc_u32 s1, s1, 0
	s_mov_b32 s32, 0
	s_waitcnt lgkmcnt(0)
	s_ashr_i32 s7, s6, 31
	s_lshr_b32 s7, s7, 29
	s_add_i32 s6, s6, s7
	s_ashr_i32 s6, s6, 3
	v_cmp_gt_i32_e32 vcc, s6, v0
	s_and_saveexec_b64 s[6:7], vcc
	s_cbranch_execz .LBB38_2
; %bb.1:
	s_add_u32 s8, s4, 24
	s_addc_u32 s9, s5, 0
	s_getpc_b64 s[4:5]
	s_add_u32 s4, s4, .str@rel32@lo+4
	s_addc_u32 s5, s5, .str@rel32@hi+12
	s_getpc_b64 s[6:7]
	s_add_u32 s6, s6, __PRETTY_FUNCTION__._ZN4vllm5ld256ERNS_7u32x8_tEPKS0_@rel32@lo+4
	s_addc_u32 s7, s7, __PRETTY_FUNCTION__._ZN4vllm5ld256ERNS_7u32x8_tEPKS0_@rel32@hi+12
	v_mov_b32_e32 v0, s4
	v_mov_b32_e32 v1, s5
	;; [unrolled: 1-line block ×5, first 2 shown]
	s_getpc_b64 s[10:11]
	s_add_u32 s10, s10, __assert_fail@rel32@lo+4
	s_addc_u32 s11, s11, __assert_fail@rel32@hi+12
	s_swappc_b64 s[30:31], s[10:11]
	; divergent unreachable
.LBB38_2:
	s_endpgm
	.section	.rodata,"a",@progbits
	.p2align	6, 0x0
	.amdhsa_kernel _ZN4vllm18act_and_mul_kernelIf15HIP_vector_typeIfLj2EETnPFT_RKS3_EXadL_ZNS_16gelu_tanh_kernelIfEES3_S5_EETnPFT0_RKS9_EXadL_ZNS_23packed_gelu_tanh_kernelIS2_EES3_S5_EELb1ELb1ELb0ELb1EEEvPS3_PS4_if
		.amdhsa_group_segment_fixed_size 0
		.amdhsa_private_segment_fixed_size 64
		.amdhsa_kernarg_size 280
		.amdhsa_user_sgpr_count 8
		.amdhsa_user_sgpr_private_segment_buffer 1
		.amdhsa_user_sgpr_dispatch_ptr 0
		.amdhsa_user_sgpr_queue_ptr 0
		.amdhsa_user_sgpr_kernarg_segment_ptr 1
		.amdhsa_user_sgpr_dispatch_id 0
		.amdhsa_user_sgpr_flat_scratch_init 1
		.amdhsa_user_sgpr_kernarg_preload_length 0
		.amdhsa_user_sgpr_kernarg_preload_offset 0
		.amdhsa_user_sgpr_private_segment_size 0
		.amdhsa_uses_dynamic_stack 0
		.amdhsa_system_sgpr_private_segment_wavefront_offset 1
		.amdhsa_system_sgpr_workgroup_id_x 1
		.amdhsa_system_sgpr_workgroup_id_y 0
		.amdhsa_system_sgpr_workgroup_id_z 0
		.amdhsa_system_sgpr_workgroup_info 0
		.amdhsa_system_vgpr_workitem_id 0
		.amdhsa_next_free_vgpr 51
		.amdhsa_next_free_sgpr 34
		.amdhsa_accum_offset 52
		.amdhsa_reserve_vcc 1
		.amdhsa_reserve_flat_scratch 1
		.amdhsa_float_round_mode_32 0
		.amdhsa_float_round_mode_16_64 0
		.amdhsa_float_denorm_mode_32 3
		.amdhsa_float_denorm_mode_16_64 3
		.amdhsa_dx10_clamp 1
		.amdhsa_ieee_mode 1
		.amdhsa_fp16_overflow 0
		.amdhsa_tg_split 0
		.amdhsa_exception_fp_ieee_invalid_op 0
		.amdhsa_exception_fp_denorm_src 0
		.amdhsa_exception_fp_ieee_div_zero 0
		.amdhsa_exception_fp_ieee_overflow 0
		.amdhsa_exception_fp_ieee_underflow 0
		.amdhsa_exception_fp_ieee_inexact 0
		.amdhsa_exception_int_div_zero 0
	.end_amdhsa_kernel
	.section	.text._ZN4vllm18act_and_mul_kernelIf15HIP_vector_typeIfLj2EETnPFT_RKS3_EXadL_ZNS_16gelu_tanh_kernelIfEES3_S5_EETnPFT0_RKS9_EXadL_ZNS_23packed_gelu_tanh_kernelIS2_EES3_S5_EELb1ELb1ELb0ELb1EEEvPS3_PS4_if,"axG",@progbits,_ZN4vllm18act_and_mul_kernelIf15HIP_vector_typeIfLj2EETnPFT_RKS3_EXadL_ZNS_16gelu_tanh_kernelIfEES3_S5_EETnPFT0_RKS9_EXadL_ZNS_23packed_gelu_tanh_kernelIS2_EES3_S5_EELb1ELb1ELb0ELb1EEEvPS3_PS4_if,comdat
.Lfunc_end38:
	.size	_ZN4vllm18act_and_mul_kernelIf15HIP_vector_typeIfLj2EETnPFT_RKS3_EXadL_ZNS_16gelu_tanh_kernelIfEES3_S5_EETnPFT0_RKS9_EXadL_ZNS_23packed_gelu_tanh_kernelIS2_EES3_S5_EELb1ELb1ELb0ELb1EEEvPS3_PS4_if, .Lfunc_end38-_ZN4vllm18act_and_mul_kernelIf15HIP_vector_typeIfLj2EETnPFT_RKS3_EXadL_ZNS_16gelu_tanh_kernelIfEES3_S5_EETnPFT0_RKS9_EXadL_ZNS_23packed_gelu_tanh_kernelIS2_EES3_S5_EELb1ELb1ELb0ELb1EEEvPS3_PS4_if
                                        ; -- End function
	.section	.AMDGPU.csdata,"",@progbits
; Kernel info:
; codeLenInByte = 160
; NumSgprs: 40
; NumVgprs: 51
; NumAgprs: 0
; TotalNumVgprs: 51
; ScratchSize: 64
; MemoryBound: 0
; FloatMode: 240
; IeeeMode: 1
; LDSByteSize: 0 bytes/workgroup (compile time only)
; SGPRBlocks: 4
; VGPRBlocks: 6
; NumSGPRsForWavesPerEU: 40
; NumVGPRsForWavesPerEU: 51
; AccumOffset: 52
; Occupancy: 8
; WaveLimiterHint : 1
; COMPUTE_PGM_RSRC2:SCRATCH_EN: 1
; COMPUTE_PGM_RSRC2:USER_SGPR: 8
; COMPUTE_PGM_RSRC2:TRAP_HANDLER: 0
; COMPUTE_PGM_RSRC2:TGID_X_EN: 1
; COMPUTE_PGM_RSRC2:TGID_Y_EN: 0
; COMPUTE_PGM_RSRC2:TGID_Z_EN: 0
; COMPUTE_PGM_RSRC2:TIDIG_COMP_CNT: 0
; COMPUTE_PGM_RSRC3_GFX90A:ACCUM_OFFSET: 12
; COMPUTE_PGM_RSRC3_GFX90A:TG_SPLIT: 0
	.section	.text._ZN4vllm18act_and_mul_kernelIN3c104HalfE7__half2TnPFT_RKS4_EXadL_ZNS_16gelu_tanh_kernelIS2_EES4_S6_EETnPFT0_RKSA_EXadL_ZNS_23packed_gelu_tanh_kernelIS3_EES4_S6_EELb1ELb1ELb0ELb1EEEvPS4_PS5_if,"axG",@progbits,_ZN4vllm18act_and_mul_kernelIN3c104HalfE7__half2TnPFT_RKS4_EXadL_ZNS_16gelu_tanh_kernelIS2_EES4_S6_EETnPFT0_RKSA_EXadL_ZNS_23packed_gelu_tanh_kernelIS3_EES4_S6_EELb1ELb1ELb0ELb1EEEvPS4_PS5_if,comdat
	.protected	_ZN4vllm18act_and_mul_kernelIN3c104HalfE7__half2TnPFT_RKS4_EXadL_ZNS_16gelu_tanh_kernelIS2_EES4_S6_EETnPFT0_RKSA_EXadL_ZNS_23packed_gelu_tanh_kernelIS3_EES4_S6_EELb1ELb1ELb0ELb1EEEvPS4_PS5_if ; -- Begin function _ZN4vllm18act_and_mul_kernelIN3c104HalfE7__half2TnPFT_RKS4_EXadL_ZNS_16gelu_tanh_kernelIS2_EES4_S6_EETnPFT0_RKSA_EXadL_ZNS_23packed_gelu_tanh_kernelIS3_EES4_S6_EELb1ELb1ELb0ELb1EEEvPS4_PS5_if
	.globl	_ZN4vllm18act_and_mul_kernelIN3c104HalfE7__half2TnPFT_RKS4_EXadL_ZNS_16gelu_tanh_kernelIS2_EES4_S6_EETnPFT0_RKSA_EXadL_ZNS_23packed_gelu_tanh_kernelIS3_EES4_S6_EELb1ELb1ELb0ELb1EEEvPS4_PS5_if
	.p2align	8
	.type	_ZN4vllm18act_and_mul_kernelIN3c104HalfE7__half2TnPFT_RKS4_EXadL_ZNS_16gelu_tanh_kernelIS2_EES4_S6_EETnPFT0_RKSA_EXadL_ZNS_23packed_gelu_tanh_kernelIS3_EES4_S6_EELb1ELb1ELb0ELb1EEEvPS4_PS5_if,@function
_ZN4vllm18act_and_mul_kernelIN3c104HalfE7__half2TnPFT_RKS4_EXadL_ZNS_16gelu_tanh_kernelIS2_EES4_S6_EETnPFT0_RKSA_EXadL_ZNS_23packed_gelu_tanh_kernelIS3_EES4_S6_EELb1ELb1ELb0ELb1EEEvPS4_PS5_if: ; @_ZN4vllm18act_and_mul_kernelIN3c104HalfE7__half2TnPFT_RKS4_EXadL_ZNS_16gelu_tanh_kernelIS2_EES4_S6_EETnPFT0_RKSA_EXadL_ZNS_23packed_gelu_tanh_kernelIS3_EES4_S6_EELb1ELb1ELb0ELb1EEEvPS4_PS5_if
; %bb.0:
	s_add_u32 flat_scratch_lo, s6, s9
	s_load_dword s6, s[4:5], 0x10
	s_addc_u32 flat_scratch_hi, s7, 0
	s_add_u32 s0, s0, s9
	s_addc_u32 s1, s1, 0
	s_mov_b32 s32, 0
	s_waitcnt lgkmcnt(0)
	s_ashr_i32 s7, s6, 31
	s_lshr_b32 s7, s7, 28
	s_add_i32 s6, s6, s7
	s_ashr_i32 s6, s6, 4
	v_cmp_gt_i32_e32 vcc, s6, v0
	s_and_saveexec_b64 s[6:7], vcc
	s_cbranch_execz .LBB39_2
; %bb.1:
	s_add_u32 s8, s4, 24
	s_addc_u32 s9, s5, 0
	s_getpc_b64 s[4:5]
	s_add_u32 s4, s4, .str@rel32@lo+4
	s_addc_u32 s5, s5, .str@rel32@hi+12
	s_getpc_b64 s[6:7]
	s_add_u32 s6, s6, __PRETTY_FUNCTION__._ZN4vllm5ld256ERNS_7u32x8_tEPKS0_@rel32@lo+4
	s_addc_u32 s7, s7, __PRETTY_FUNCTION__._ZN4vllm5ld256ERNS_7u32x8_tEPKS0_@rel32@hi+12
	v_mov_b32_e32 v0, s4
	v_mov_b32_e32 v1, s5
	;; [unrolled: 1-line block ×5, first 2 shown]
	s_getpc_b64 s[10:11]
	s_add_u32 s10, s10, __assert_fail@rel32@lo+4
	s_addc_u32 s11, s11, __assert_fail@rel32@hi+12
	s_swappc_b64 s[30:31], s[10:11]
	; divergent unreachable
.LBB39_2:
	s_endpgm
	.section	.rodata,"a",@progbits
	.p2align	6, 0x0
	.amdhsa_kernel _ZN4vllm18act_and_mul_kernelIN3c104HalfE7__half2TnPFT_RKS4_EXadL_ZNS_16gelu_tanh_kernelIS2_EES4_S6_EETnPFT0_RKSA_EXadL_ZNS_23packed_gelu_tanh_kernelIS3_EES4_S6_EELb1ELb1ELb0ELb1EEEvPS4_PS5_if
		.amdhsa_group_segment_fixed_size 0
		.amdhsa_private_segment_fixed_size 64
		.amdhsa_kernarg_size 280
		.amdhsa_user_sgpr_count 8
		.amdhsa_user_sgpr_private_segment_buffer 1
		.amdhsa_user_sgpr_dispatch_ptr 0
		.amdhsa_user_sgpr_queue_ptr 0
		.amdhsa_user_sgpr_kernarg_segment_ptr 1
		.amdhsa_user_sgpr_dispatch_id 0
		.amdhsa_user_sgpr_flat_scratch_init 1
		.amdhsa_user_sgpr_kernarg_preload_length 0
		.amdhsa_user_sgpr_kernarg_preload_offset 0
		.amdhsa_user_sgpr_private_segment_size 0
		.amdhsa_uses_dynamic_stack 0
		.amdhsa_system_sgpr_private_segment_wavefront_offset 1
		.amdhsa_system_sgpr_workgroup_id_x 1
		.amdhsa_system_sgpr_workgroup_id_y 0
		.amdhsa_system_sgpr_workgroup_id_z 0
		.amdhsa_system_sgpr_workgroup_info 0
		.amdhsa_system_vgpr_workitem_id 0
		.amdhsa_next_free_vgpr 51
		.amdhsa_next_free_sgpr 34
		.amdhsa_accum_offset 52
		.amdhsa_reserve_vcc 1
		.amdhsa_reserve_flat_scratch 1
		.amdhsa_float_round_mode_32 0
		.amdhsa_float_round_mode_16_64 0
		.amdhsa_float_denorm_mode_32 3
		.amdhsa_float_denorm_mode_16_64 3
		.amdhsa_dx10_clamp 1
		.amdhsa_ieee_mode 1
		.amdhsa_fp16_overflow 0
		.amdhsa_tg_split 0
		.amdhsa_exception_fp_ieee_invalid_op 0
		.amdhsa_exception_fp_denorm_src 0
		.amdhsa_exception_fp_ieee_div_zero 0
		.amdhsa_exception_fp_ieee_overflow 0
		.amdhsa_exception_fp_ieee_underflow 0
		.amdhsa_exception_fp_ieee_inexact 0
		.amdhsa_exception_int_div_zero 0
	.end_amdhsa_kernel
	.section	.text._ZN4vllm18act_and_mul_kernelIN3c104HalfE7__half2TnPFT_RKS4_EXadL_ZNS_16gelu_tanh_kernelIS2_EES4_S6_EETnPFT0_RKSA_EXadL_ZNS_23packed_gelu_tanh_kernelIS3_EES4_S6_EELb1ELb1ELb0ELb1EEEvPS4_PS5_if,"axG",@progbits,_ZN4vllm18act_and_mul_kernelIN3c104HalfE7__half2TnPFT_RKS4_EXadL_ZNS_16gelu_tanh_kernelIS2_EES4_S6_EETnPFT0_RKSA_EXadL_ZNS_23packed_gelu_tanh_kernelIS3_EES4_S6_EELb1ELb1ELb0ELb1EEEvPS4_PS5_if,comdat
.Lfunc_end39:
	.size	_ZN4vllm18act_and_mul_kernelIN3c104HalfE7__half2TnPFT_RKS4_EXadL_ZNS_16gelu_tanh_kernelIS2_EES4_S6_EETnPFT0_RKSA_EXadL_ZNS_23packed_gelu_tanh_kernelIS3_EES4_S6_EELb1ELb1ELb0ELb1EEEvPS4_PS5_if, .Lfunc_end39-_ZN4vllm18act_and_mul_kernelIN3c104HalfE7__half2TnPFT_RKS4_EXadL_ZNS_16gelu_tanh_kernelIS2_EES4_S6_EETnPFT0_RKSA_EXadL_ZNS_23packed_gelu_tanh_kernelIS3_EES4_S6_EELb1ELb1ELb0ELb1EEEvPS4_PS5_if
                                        ; -- End function
	.section	.AMDGPU.csdata,"",@progbits
; Kernel info:
; codeLenInByte = 160
; NumSgprs: 40
; NumVgprs: 51
; NumAgprs: 0
; TotalNumVgprs: 51
; ScratchSize: 64
; MemoryBound: 0
; FloatMode: 240
; IeeeMode: 1
; LDSByteSize: 0 bytes/workgroup (compile time only)
; SGPRBlocks: 4
; VGPRBlocks: 6
; NumSGPRsForWavesPerEU: 40
; NumVGPRsForWavesPerEU: 51
; AccumOffset: 52
; Occupancy: 8
; WaveLimiterHint : 1
; COMPUTE_PGM_RSRC2:SCRATCH_EN: 1
; COMPUTE_PGM_RSRC2:USER_SGPR: 8
; COMPUTE_PGM_RSRC2:TRAP_HANDLER: 0
; COMPUTE_PGM_RSRC2:TGID_X_EN: 1
; COMPUTE_PGM_RSRC2:TGID_Y_EN: 0
; COMPUTE_PGM_RSRC2:TGID_Z_EN: 0
; COMPUTE_PGM_RSRC2:TIDIG_COMP_CNT: 0
; COMPUTE_PGM_RSRC3_GFX90A:ACCUM_OFFSET: 12
; COMPUTE_PGM_RSRC3_GFX90A:TG_SPLIT: 0
	.section	.text._ZN4vllm18act_and_mul_kernelIN3c108BFloat16E15__hip_bfloat162TnPFT_RKS4_EXadL_ZNS_16gelu_tanh_kernelIS2_EES4_S6_EETnPFT0_RKSA_EXadL_ZNS_23packed_gelu_tanh_kernelIS3_EES4_S6_EELb1ELb1ELb0ELb1EEEvPS4_PS5_if,"axG",@progbits,_ZN4vllm18act_and_mul_kernelIN3c108BFloat16E15__hip_bfloat162TnPFT_RKS4_EXadL_ZNS_16gelu_tanh_kernelIS2_EES4_S6_EETnPFT0_RKSA_EXadL_ZNS_23packed_gelu_tanh_kernelIS3_EES4_S6_EELb1ELb1ELb0ELb1EEEvPS4_PS5_if,comdat
	.protected	_ZN4vllm18act_and_mul_kernelIN3c108BFloat16E15__hip_bfloat162TnPFT_RKS4_EXadL_ZNS_16gelu_tanh_kernelIS2_EES4_S6_EETnPFT0_RKSA_EXadL_ZNS_23packed_gelu_tanh_kernelIS3_EES4_S6_EELb1ELb1ELb0ELb1EEEvPS4_PS5_if ; -- Begin function _ZN4vllm18act_and_mul_kernelIN3c108BFloat16E15__hip_bfloat162TnPFT_RKS4_EXadL_ZNS_16gelu_tanh_kernelIS2_EES4_S6_EETnPFT0_RKSA_EXadL_ZNS_23packed_gelu_tanh_kernelIS3_EES4_S6_EELb1ELb1ELb0ELb1EEEvPS4_PS5_if
	.globl	_ZN4vllm18act_and_mul_kernelIN3c108BFloat16E15__hip_bfloat162TnPFT_RKS4_EXadL_ZNS_16gelu_tanh_kernelIS2_EES4_S6_EETnPFT0_RKSA_EXadL_ZNS_23packed_gelu_tanh_kernelIS3_EES4_S6_EELb1ELb1ELb0ELb1EEEvPS4_PS5_if
	.p2align	8
	.type	_ZN4vllm18act_and_mul_kernelIN3c108BFloat16E15__hip_bfloat162TnPFT_RKS4_EXadL_ZNS_16gelu_tanh_kernelIS2_EES4_S6_EETnPFT0_RKSA_EXadL_ZNS_23packed_gelu_tanh_kernelIS3_EES4_S6_EELb1ELb1ELb0ELb1EEEvPS4_PS5_if,@function
_ZN4vllm18act_and_mul_kernelIN3c108BFloat16E15__hip_bfloat162TnPFT_RKS4_EXadL_ZNS_16gelu_tanh_kernelIS2_EES4_S6_EETnPFT0_RKSA_EXadL_ZNS_23packed_gelu_tanh_kernelIS3_EES4_S6_EELb1ELb1ELb0ELb1EEEvPS4_PS5_if: ; @_ZN4vllm18act_and_mul_kernelIN3c108BFloat16E15__hip_bfloat162TnPFT_RKS4_EXadL_ZNS_16gelu_tanh_kernelIS2_EES4_S6_EETnPFT0_RKSA_EXadL_ZNS_23packed_gelu_tanh_kernelIS3_EES4_S6_EELb1ELb1ELb0ELb1EEEvPS4_PS5_if
; %bb.0:
	s_add_u32 flat_scratch_lo, s6, s9
	s_load_dword s6, s[4:5], 0x10
	s_addc_u32 flat_scratch_hi, s7, 0
	s_add_u32 s0, s0, s9
	s_addc_u32 s1, s1, 0
	s_mov_b32 s32, 0
	s_waitcnt lgkmcnt(0)
	s_ashr_i32 s7, s6, 31
	s_lshr_b32 s7, s7, 28
	s_add_i32 s6, s6, s7
	s_ashr_i32 s6, s6, 4
	v_cmp_gt_i32_e32 vcc, s6, v0
	s_and_saveexec_b64 s[6:7], vcc
	s_cbranch_execz .LBB40_2
; %bb.1:
	s_add_u32 s8, s4, 24
	s_addc_u32 s9, s5, 0
	s_getpc_b64 s[4:5]
	s_add_u32 s4, s4, .str@rel32@lo+4
	s_addc_u32 s5, s5, .str@rel32@hi+12
	s_getpc_b64 s[6:7]
	s_add_u32 s6, s6, __PRETTY_FUNCTION__._ZN4vllm5ld256ERNS_7u32x8_tEPKS0_@rel32@lo+4
	s_addc_u32 s7, s7, __PRETTY_FUNCTION__._ZN4vllm5ld256ERNS_7u32x8_tEPKS0_@rel32@hi+12
	v_mov_b32_e32 v0, s4
	v_mov_b32_e32 v1, s5
	;; [unrolled: 1-line block ×5, first 2 shown]
	s_getpc_b64 s[10:11]
	s_add_u32 s10, s10, __assert_fail@rel32@lo+4
	s_addc_u32 s11, s11, __assert_fail@rel32@hi+12
	s_swappc_b64 s[30:31], s[10:11]
	; divergent unreachable
.LBB40_2:
	s_endpgm
	.section	.rodata,"a",@progbits
	.p2align	6, 0x0
	.amdhsa_kernel _ZN4vllm18act_and_mul_kernelIN3c108BFloat16E15__hip_bfloat162TnPFT_RKS4_EXadL_ZNS_16gelu_tanh_kernelIS2_EES4_S6_EETnPFT0_RKSA_EXadL_ZNS_23packed_gelu_tanh_kernelIS3_EES4_S6_EELb1ELb1ELb0ELb1EEEvPS4_PS5_if
		.amdhsa_group_segment_fixed_size 0
		.amdhsa_private_segment_fixed_size 64
		.amdhsa_kernarg_size 280
		.amdhsa_user_sgpr_count 8
		.amdhsa_user_sgpr_private_segment_buffer 1
		.amdhsa_user_sgpr_dispatch_ptr 0
		.amdhsa_user_sgpr_queue_ptr 0
		.amdhsa_user_sgpr_kernarg_segment_ptr 1
		.amdhsa_user_sgpr_dispatch_id 0
		.amdhsa_user_sgpr_flat_scratch_init 1
		.amdhsa_user_sgpr_kernarg_preload_length 0
		.amdhsa_user_sgpr_kernarg_preload_offset 0
		.amdhsa_user_sgpr_private_segment_size 0
		.amdhsa_uses_dynamic_stack 0
		.amdhsa_system_sgpr_private_segment_wavefront_offset 1
		.amdhsa_system_sgpr_workgroup_id_x 1
		.amdhsa_system_sgpr_workgroup_id_y 0
		.amdhsa_system_sgpr_workgroup_id_z 0
		.amdhsa_system_sgpr_workgroup_info 0
		.amdhsa_system_vgpr_workitem_id 0
		.amdhsa_next_free_vgpr 51
		.amdhsa_next_free_sgpr 34
		.amdhsa_accum_offset 52
		.amdhsa_reserve_vcc 1
		.amdhsa_reserve_flat_scratch 1
		.amdhsa_float_round_mode_32 0
		.amdhsa_float_round_mode_16_64 0
		.amdhsa_float_denorm_mode_32 3
		.amdhsa_float_denorm_mode_16_64 3
		.amdhsa_dx10_clamp 1
		.amdhsa_ieee_mode 1
		.amdhsa_fp16_overflow 0
		.amdhsa_tg_split 0
		.amdhsa_exception_fp_ieee_invalid_op 0
		.amdhsa_exception_fp_denorm_src 0
		.amdhsa_exception_fp_ieee_div_zero 0
		.amdhsa_exception_fp_ieee_overflow 0
		.amdhsa_exception_fp_ieee_underflow 0
		.amdhsa_exception_fp_ieee_inexact 0
		.amdhsa_exception_int_div_zero 0
	.end_amdhsa_kernel
	.section	.text._ZN4vllm18act_and_mul_kernelIN3c108BFloat16E15__hip_bfloat162TnPFT_RKS4_EXadL_ZNS_16gelu_tanh_kernelIS2_EES4_S6_EETnPFT0_RKSA_EXadL_ZNS_23packed_gelu_tanh_kernelIS3_EES4_S6_EELb1ELb1ELb0ELb1EEEvPS4_PS5_if,"axG",@progbits,_ZN4vllm18act_and_mul_kernelIN3c108BFloat16E15__hip_bfloat162TnPFT_RKS4_EXadL_ZNS_16gelu_tanh_kernelIS2_EES4_S6_EETnPFT0_RKSA_EXadL_ZNS_23packed_gelu_tanh_kernelIS3_EES4_S6_EELb1ELb1ELb0ELb1EEEvPS4_PS5_if,comdat
.Lfunc_end40:
	.size	_ZN4vllm18act_and_mul_kernelIN3c108BFloat16E15__hip_bfloat162TnPFT_RKS4_EXadL_ZNS_16gelu_tanh_kernelIS2_EES4_S6_EETnPFT0_RKSA_EXadL_ZNS_23packed_gelu_tanh_kernelIS3_EES4_S6_EELb1ELb1ELb0ELb1EEEvPS4_PS5_if, .Lfunc_end40-_ZN4vllm18act_and_mul_kernelIN3c108BFloat16E15__hip_bfloat162TnPFT_RKS4_EXadL_ZNS_16gelu_tanh_kernelIS2_EES4_S6_EETnPFT0_RKSA_EXadL_ZNS_23packed_gelu_tanh_kernelIS3_EES4_S6_EELb1ELb1ELb0ELb1EEEvPS4_PS5_if
                                        ; -- End function
	.section	.AMDGPU.csdata,"",@progbits
; Kernel info:
; codeLenInByte = 160
; NumSgprs: 40
; NumVgprs: 51
; NumAgprs: 0
; TotalNumVgprs: 51
; ScratchSize: 64
; MemoryBound: 0
; FloatMode: 240
; IeeeMode: 1
; LDSByteSize: 0 bytes/workgroup (compile time only)
; SGPRBlocks: 4
; VGPRBlocks: 6
; NumSGPRsForWavesPerEU: 40
; NumVGPRsForWavesPerEU: 51
; AccumOffset: 52
; Occupancy: 8
; WaveLimiterHint : 1
; COMPUTE_PGM_RSRC2:SCRATCH_EN: 1
; COMPUTE_PGM_RSRC2:USER_SGPR: 8
; COMPUTE_PGM_RSRC2:TRAP_HANDLER: 0
; COMPUTE_PGM_RSRC2:TGID_X_EN: 1
; COMPUTE_PGM_RSRC2:TGID_Y_EN: 0
; COMPUTE_PGM_RSRC2:TGID_Z_EN: 0
; COMPUTE_PGM_RSRC2:TIDIG_COMP_CNT: 0
; COMPUTE_PGM_RSRC3_GFX90A:ACCUM_OFFSET: 12
; COMPUTE_PGM_RSRC3_GFX90A:TG_SPLIT: 0
	.section	.text._ZN4vllm18act_and_mul_kernelIf15HIP_vector_typeIfLj2EETnPFT_RKS3_EXadL_ZNS_16gelu_tanh_kernelIfEES3_S5_EETnPFT0_RKS9_EXadL_ZNS_23packed_gelu_tanh_kernelIS2_EES3_S5_EELb1ELb1ELb0ELb0EEEvPS3_PS4_if,"axG",@progbits,_ZN4vllm18act_and_mul_kernelIf15HIP_vector_typeIfLj2EETnPFT_RKS3_EXadL_ZNS_16gelu_tanh_kernelIfEES3_S5_EETnPFT0_RKS9_EXadL_ZNS_23packed_gelu_tanh_kernelIS2_EES3_S5_EELb1ELb1ELb0ELb0EEEvPS3_PS4_if,comdat
	.protected	_ZN4vllm18act_and_mul_kernelIf15HIP_vector_typeIfLj2EETnPFT_RKS3_EXadL_ZNS_16gelu_tanh_kernelIfEES3_S5_EETnPFT0_RKS9_EXadL_ZNS_23packed_gelu_tanh_kernelIS2_EES3_S5_EELb1ELb1ELb0ELb0EEEvPS3_PS4_if ; -- Begin function _ZN4vllm18act_and_mul_kernelIf15HIP_vector_typeIfLj2EETnPFT_RKS3_EXadL_ZNS_16gelu_tanh_kernelIfEES3_S5_EETnPFT0_RKS9_EXadL_ZNS_23packed_gelu_tanh_kernelIS2_EES3_S5_EELb1ELb1ELb0ELb0EEEvPS3_PS4_if
	.globl	_ZN4vllm18act_and_mul_kernelIf15HIP_vector_typeIfLj2EETnPFT_RKS3_EXadL_ZNS_16gelu_tanh_kernelIfEES3_S5_EETnPFT0_RKS9_EXadL_ZNS_23packed_gelu_tanh_kernelIS2_EES3_S5_EELb1ELb1ELb0ELb0EEEvPS3_PS4_if
	.p2align	8
	.type	_ZN4vllm18act_and_mul_kernelIf15HIP_vector_typeIfLj2EETnPFT_RKS3_EXadL_ZNS_16gelu_tanh_kernelIfEES3_S5_EETnPFT0_RKS9_EXadL_ZNS_23packed_gelu_tanh_kernelIS2_EES3_S5_EELb1ELb1ELb0ELb0EEEvPS3_PS4_if,@function
_ZN4vllm18act_and_mul_kernelIf15HIP_vector_typeIfLj2EETnPFT_RKS3_EXadL_ZNS_16gelu_tanh_kernelIfEES3_S5_EETnPFT0_RKS9_EXadL_ZNS_23packed_gelu_tanh_kernelIS2_EES3_S5_EELb1ELb1ELb0ELb0EEEvPS3_PS4_if: ; @_ZN4vllm18act_and_mul_kernelIf15HIP_vector_typeIfLj2EETnPFT_RKS3_EXadL_ZNS_16gelu_tanh_kernelIfEES3_S5_EETnPFT0_RKS9_EXadL_ZNS_23packed_gelu_tanh_kernelIS2_EES3_S5_EELb1ELb1ELb0ELb0EEEvPS3_PS4_if
; %bb.0:
	s_load_dword s0, s[4:5], 0x10
	s_waitcnt lgkmcnt(0)
	s_ashr_i32 s1, s0, 31
	s_lshr_b32 s2, s1, 30
	s_add_i32 s2, s0, s2
	s_ashr_i32 s7, s2, 2
	v_cmp_gt_i32_e32 vcc, s7, v0
	s_and_saveexec_b64 s[2:3], vcc
	s_cbranch_execz .LBB41_19
; %bb.1:
	s_load_dwordx4 s[12:15], s[4:5], 0x0
	s_load_dword s8, s[4:5], 0x24
	s_mul_i32 s2, s6, s0
	s_lshl_b32 s4, s2, 1
	s_mov_b32 s5, 0
	s_mov_b32 s3, s5
	s_waitcnt lgkmcnt(0)
	s_and_b32 s6, s8, 0xffff
	s_lshl_b64 s[4:5], s[4:5], 2
	s_add_u32 s4, s14, s4
	v_lshlrev_b32_e32 v2, 4, v0
	s_addc_u32 s5, s15, s5
	v_mov_b32_e32 v3, s5
	v_add_co_u32_e32 v1, vcc, s4, v2
	v_addc_co_u32_e32 v12, vcc, 0, v3, vcc
	s_lshl_b64 s[0:1], s[0:1], 2
	s_lshl_b32 s8, s6, 4
	v_mov_b32_e32 v3, s1
	v_add_co_u32_e32 v13, vcc, s0, v1
	s_lshl_b64 s[0:1], s[2:3], 2
	s_add_u32 s0, s12, s0
	v_addc_co_u32_e32 v14, vcc, v12, v3, vcc
	s_addc_u32 s1, s13, s1
	v_mov_b32_e32 v3, s1
	v_add_co_u32_e32 v15, vcc, s0, v2
	v_addc_co_u32_e32 v16, vcc, 0, v3, vcc
	s_mov_b64 s[0:1], 0
	s_mov_b32 s9, 0x3f200000
	s_mov_b32 s10, 0x3fb8aa3b
	;; [unrolled: 1-line block ×4, first 2 shown]
	v_mov_b32_e32 v17, 0xbd5c1c4e
	v_mov_b32_e32 v18, 0x3e088382
	;; [unrolled: 1-line block ×3, first 2 shown]
	s_brev_b32 s13, -2
	v_mov_b32_e32 v20, 0x7f800000
	s_mov_b64 s[2:3], 0
	s_branch .LBB41_3
.LBB41_2:                               ;   in Loop: Header=BB41_3 Depth=1
	s_or_b64 exec, exec, s[4:5]
	v_bfi_b32 v23, s13, v24, v23
	v_bfi_b32 v22, s13, v22, v21
	v_pk_mul_f32 v[6:7], v[6:7], 0.5 op_sel_hi:[1,0]
	v_pk_add_f32 v[22:23], v[22:23], 1.0 op_sel_hi:[1,0]
	v_pk_mul_f32 v[6:7], v[6:7], v[22:23]
	v_bfi_b32 v11, s13, v26, v11
	v_bfi_b32 v10, s13, v25, v10
	s_waitcnt vmcnt(0)
	v_pk_mul_f32 v[2:3], v[6:7], v[2:3]
	v_mov_b32_e32 v7, s3
	v_add_co_u32_e32 v6, vcc, s2, v15
	v_pk_mul_f32 v[8:9], v[8:9], 0.5 op_sel_hi:[1,0]
	v_pk_add_f32 v[10:11], v[10:11], 1.0 op_sel_hi:[1,0]
	v_addc_co_u32_e32 v7, vcc, v16, v7, vcc
	v_add_u32_e32 v0, s6, v0
	s_add_u32 s2, s2, s8
	v_pk_mul_f32 v[8:9], v[8:9], v[10:11]
	s_addc_u32 s3, s3, 0
	v_cmp_le_i32_e32 vcc, s7, v0
	v_pk_mul_f32 v[4:5], v[8:9], v[4:5]
	s_or_b64 s[0:1], vcc, s[0:1]
	global_store_dwordx4 v[6:7], v[2:5], off
	s_andn2_b64 exec, exec, s[0:1]
	s_cbranch_execz .LBB41_19
.LBB41_3:                               ; =>This Inner Loop Header: Depth=1
	v_mov_b32_e32 v4, s3
	v_add_co_u32_e32 v2, vcc, s2, v1
	v_addc_co_u32_e32 v3, vcc, v12, v4, vcc
	global_load_dwordx4 v[6:9], v[2:3], off
	v_add_co_u32_e32 v2, vcc, s2, v13
	v_addc_co_u32_e32 v3, vcc, v14, v4, vcc
	global_load_dwordx4 v[2:5], v[2:3], off
                                        ; implicit-def: $vgpr22
	s_waitcnt vmcnt(1)
	v_pk_mul_f32 v[10:11], v[6:7], v[6:7]
	v_pk_mul_f32 v[10:11], v[10:11], v[6:7]
	v_mov_b32_e32 v21, v6
	v_fmac_f32_e32 v21, 0x3d372713, v10
	v_mul_f32_e32 v21, 0x3f4c422a, v21
	v_cmp_nlt_f32_e64 s[4:5], |v21|, s9
	s_and_saveexec_b64 s[14:15], s[4:5]
	s_xor_b64 s[4:5], exec, s[14:15]
	s_cbranch_execz .LBB41_5
; %bb.4:                                ;   in Loop: Header=BB41_3 Depth=1
	v_add_f32_e64 v10, |v21|, |v21|
	v_mul_f32_e32 v22, 0x3fb8aa3b, v10
	v_rndne_f32_e32 v23, v22
	v_sub_f32_e32 v24, v22, v23
	v_fma_f32 v22, v10, s10, -v22
	v_fmac_f32_e32 v22, 0x32a5705f, v10
	v_add_f32_e32 v22, v24, v22
	v_cvt_i32_f32_e32 v23, v23
	v_exp_f32_e32 v22, v22
	v_cmp_ngt_f32_e32 vcc, s11, v10
	v_ldexp_f32 v22, v22, v23
	v_cndmask_b32_e32 v22, 0, v22, vcc
	v_cmp_nlt_f32_e32 vcc, s12, v10
	v_cndmask_b32_e32 v10, v20, v22, vcc
	v_add_f32_e32 v10, 1.0, v10
	v_rcp_f32_e32 v10, v10
	v_fma_f32 v22, v10, -2.0, 1.0
.LBB41_5:                               ;   in Loop: Header=BB41_3 Depth=1
	s_andn2_saveexec_b64 s[4:5], s[4:5]
; %bb.6:                                ;   in Loop: Header=BB41_3 Depth=1
	v_mul_f32_e32 v10, v21, v21
	v_mov_b32_e32 v22, 0x3ca908c9
	v_fmac_f32_e32 v22, 0xbbbac73d, v10
	v_fma_f32 v22, v10, v22, v17
	v_fma_f32 v22, v10, v22, v18
	;; [unrolled: 1-line block ×3, first 2 shown]
	v_mul_f32_e64 v22, |v21|, v22
	v_fma_f32 v22, v10, v22, |v21|
; %bb.7:                                ;   in Loop: Header=BB41_3 Depth=1
	s_or_b64 exec, exec, s[4:5]
	v_mov_b32_e32 v10, v7
	v_fmac_f32_e32 v10, 0x3d372713, v11
	v_mul_f32_e32 v23, 0x3f4c422a, v10
	v_cmp_nlt_f32_e64 s[4:5], |v23|, s9
                                        ; implicit-def: $vgpr24
	s_and_saveexec_b64 s[14:15], s[4:5]
	s_xor_b64 s[4:5], exec, s[14:15]
	s_cbranch_execz .LBB41_9
; %bb.8:                                ;   in Loop: Header=BB41_3 Depth=1
	v_add_f32_e64 v10, |v23|, |v23|
	v_mul_f32_e32 v11, 0x3fb8aa3b, v10
	v_rndne_f32_e32 v24, v11
	v_sub_f32_e32 v25, v11, v24
	v_fma_f32 v11, v10, s10, -v11
	v_fmac_f32_e32 v11, 0x32a5705f, v10
	v_add_f32_e32 v11, v25, v11
	v_cvt_i32_f32_e32 v24, v24
	v_exp_f32_e32 v11, v11
	v_cmp_ngt_f32_e32 vcc, s11, v10
	v_ldexp_f32 v11, v11, v24
	v_cndmask_b32_e32 v11, 0, v11, vcc
	v_cmp_nlt_f32_e32 vcc, s12, v10
	v_cndmask_b32_e32 v10, v20, v11, vcc
	v_add_f32_e32 v10, 1.0, v10
	v_rcp_f32_e32 v10, v10
	v_fma_f32 v24, v10, -2.0, 1.0
.LBB41_9:                               ;   in Loop: Header=BB41_3 Depth=1
	s_andn2_saveexec_b64 s[4:5], s[4:5]
; %bb.10:                               ;   in Loop: Header=BB41_3 Depth=1
	v_mul_f32_e32 v10, v23, v23
	v_mov_b32_e32 v11, 0x3ca908c9
	v_fmac_f32_e32 v11, 0xbbbac73d, v10
	v_fma_f32 v11, v10, v11, v17
	v_fma_f32 v11, v10, v11, v18
	;; [unrolled: 1-line block ×3, first 2 shown]
	v_mul_f32_e64 v11, |v23|, v11
	v_fma_f32 v24, v10, v11, |v23|
; %bb.11:                               ;   in Loop: Header=BB41_3 Depth=1
	s_or_b64 exec, exec, s[4:5]
	v_pk_mul_f32 v[10:11], v[8:9], v[8:9]
	v_pk_mul_f32 v[10:11], v[10:11], v[8:9]
	v_mov_b32_e32 v25, v8
	v_fmac_f32_e32 v25, 0x3d372713, v10
	v_mul_f32_e32 v10, 0x3f4c422a, v25
	v_cmp_nlt_f32_e64 s[4:5], |v10|, s9
                                        ; implicit-def: $vgpr25
	s_and_saveexec_b64 s[14:15], s[4:5]
	s_xor_b64 s[4:5], exec, s[14:15]
	s_cbranch_execz .LBB41_13
; %bb.12:                               ;   in Loop: Header=BB41_3 Depth=1
	v_add_f32_e64 v25, |v10|, |v10|
	v_mul_f32_e32 v26, 0x3fb8aa3b, v25
	v_rndne_f32_e32 v27, v26
	v_sub_f32_e32 v28, v26, v27
	v_fma_f32 v26, v25, s10, -v26
	v_fmac_f32_e32 v26, 0x32a5705f, v25
	v_add_f32_e32 v26, v28, v26
	v_cvt_i32_f32_e32 v27, v27
	v_exp_f32_e32 v26, v26
	v_cmp_ngt_f32_e32 vcc, s11, v25
	v_ldexp_f32 v26, v26, v27
	v_cndmask_b32_e32 v26, 0, v26, vcc
	v_cmp_nlt_f32_e32 vcc, s12, v25
	v_cndmask_b32_e32 v25, v20, v26, vcc
	v_add_f32_e32 v25, 1.0, v25
	v_rcp_f32_e32 v25, v25
	v_fma_f32 v25, v25, -2.0, 1.0
.LBB41_13:                              ;   in Loop: Header=BB41_3 Depth=1
	s_andn2_saveexec_b64 s[4:5], s[4:5]
; %bb.14:                               ;   in Loop: Header=BB41_3 Depth=1
	v_mul_f32_e32 v25, v10, v10
	v_mov_b32_e32 v26, 0x3ca908c9
	v_fmac_f32_e32 v26, 0xbbbac73d, v25
	v_fma_f32 v26, v25, v26, v17
	v_fma_f32 v26, v25, v26, v18
	;; [unrolled: 1-line block ×3, first 2 shown]
	v_mul_f32_e64 v26, |v10|, v26
	v_fma_f32 v25, v25, v26, |v10|
; %bb.15:                               ;   in Loop: Header=BB41_3 Depth=1
	s_or_b64 exec, exec, s[4:5]
	v_mov_b32_e32 v26, v9
	v_fmac_f32_e32 v26, 0x3d372713, v11
	v_mul_f32_e32 v11, 0x3f4c422a, v26
	v_cmp_nlt_f32_e64 s[4:5], |v11|, s9
                                        ; implicit-def: $vgpr26
	s_and_saveexec_b64 s[14:15], s[4:5]
	s_xor_b64 s[4:5], exec, s[14:15]
	s_cbranch_execz .LBB41_17
; %bb.16:                               ;   in Loop: Header=BB41_3 Depth=1
	v_add_f32_e64 v26, |v11|, |v11|
	v_mul_f32_e32 v27, 0x3fb8aa3b, v26
	v_rndne_f32_e32 v28, v27
	v_sub_f32_e32 v29, v27, v28
	v_fma_f32 v27, v26, s10, -v27
	v_fmac_f32_e32 v27, 0x32a5705f, v26
	v_add_f32_e32 v27, v29, v27
	v_cvt_i32_f32_e32 v28, v28
	v_exp_f32_e32 v27, v27
	v_cmp_ngt_f32_e32 vcc, s11, v26
	v_ldexp_f32 v27, v27, v28
	v_cndmask_b32_e32 v27, 0, v27, vcc
	v_cmp_nlt_f32_e32 vcc, s12, v26
	v_cndmask_b32_e32 v26, v20, v27, vcc
	v_add_f32_e32 v26, 1.0, v26
	v_rcp_f32_e32 v26, v26
	v_fma_f32 v26, v26, -2.0, 1.0
.LBB41_17:                              ;   in Loop: Header=BB41_3 Depth=1
	s_andn2_saveexec_b64 s[4:5], s[4:5]
	s_cbranch_execz .LBB41_2
; %bb.18:                               ;   in Loop: Header=BB41_3 Depth=1
	v_mul_f32_e32 v26, v11, v11
	v_mov_b32_e32 v27, 0x3ca908c9
	v_fmac_f32_e32 v27, 0xbbbac73d, v26
	v_fma_f32 v27, v26, v27, v17
	v_fma_f32 v27, v26, v27, v18
	;; [unrolled: 1-line block ×3, first 2 shown]
	v_mul_f32_e64 v27, |v11|, v27
	v_fma_f32 v26, v26, v27, |v11|
	s_branch .LBB41_2
.LBB41_19:
	s_endpgm
	.section	.rodata,"a",@progbits
	.p2align	6, 0x0
	.amdhsa_kernel _ZN4vllm18act_and_mul_kernelIf15HIP_vector_typeIfLj2EETnPFT_RKS3_EXadL_ZNS_16gelu_tanh_kernelIfEES3_S5_EETnPFT0_RKS9_EXadL_ZNS_23packed_gelu_tanh_kernelIS2_EES3_S5_EELb1ELb1ELb0ELb0EEEvPS3_PS4_if
		.amdhsa_group_segment_fixed_size 0
		.amdhsa_private_segment_fixed_size 0
		.amdhsa_kernarg_size 280
		.amdhsa_user_sgpr_count 6
		.amdhsa_user_sgpr_private_segment_buffer 1
		.amdhsa_user_sgpr_dispatch_ptr 0
		.amdhsa_user_sgpr_queue_ptr 0
		.amdhsa_user_sgpr_kernarg_segment_ptr 1
		.amdhsa_user_sgpr_dispatch_id 0
		.amdhsa_user_sgpr_flat_scratch_init 0
		.amdhsa_user_sgpr_kernarg_preload_length 0
		.amdhsa_user_sgpr_kernarg_preload_offset 0
		.amdhsa_user_sgpr_private_segment_size 0
		.amdhsa_uses_dynamic_stack 0
		.amdhsa_system_sgpr_private_segment_wavefront_offset 0
		.amdhsa_system_sgpr_workgroup_id_x 1
		.amdhsa_system_sgpr_workgroup_id_y 0
		.amdhsa_system_sgpr_workgroup_id_z 0
		.amdhsa_system_sgpr_workgroup_info 0
		.amdhsa_system_vgpr_workitem_id 0
		.amdhsa_next_free_vgpr 30
		.amdhsa_next_free_sgpr 16
		.amdhsa_accum_offset 32
		.amdhsa_reserve_vcc 1
		.amdhsa_reserve_flat_scratch 0
		.amdhsa_float_round_mode_32 0
		.amdhsa_float_round_mode_16_64 0
		.amdhsa_float_denorm_mode_32 3
		.amdhsa_float_denorm_mode_16_64 3
		.amdhsa_dx10_clamp 1
		.amdhsa_ieee_mode 1
		.amdhsa_fp16_overflow 0
		.amdhsa_tg_split 0
		.amdhsa_exception_fp_ieee_invalid_op 0
		.amdhsa_exception_fp_denorm_src 0
		.amdhsa_exception_fp_ieee_div_zero 0
		.amdhsa_exception_fp_ieee_overflow 0
		.amdhsa_exception_fp_ieee_underflow 0
		.amdhsa_exception_fp_ieee_inexact 0
		.amdhsa_exception_int_div_zero 0
	.end_amdhsa_kernel
	.section	.text._ZN4vllm18act_and_mul_kernelIf15HIP_vector_typeIfLj2EETnPFT_RKS3_EXadL_ZNS_16gelu_tanh_kernelIfEES3_S5_EETnPFT0_RKS9_EXadL_ZNS_23packed_gelu_tanh_kernelIS2_EES3_S5_EELb1ELb1ELb0ELb0EEEvPS3_PS4_if,"axG",@progbits,_ZN4vllm18act_and_mul_kernelIf15HIP_vector_typeIfLj2EETnPFT_RKS3_EXadL_ZNS_16gelu_tanh_kernelIfEES3_S5_EETnPFT0_RKS9_EXadL_ZNS_23packed_gelu_tanh_kernelIS2_EES3_S5_EELb1ELb1ELb0ELb0EEEvPS3_PS4_if,comdat
.Lfunc_end41:
	.size	_ZN4vllm18act_and_mul_kernelIf15HIP_vector_typeIfLj2EETnPFT_RKS3_EXadL_ZNS_16gelu_tanh_kernelIfEES3_S5_EETnPFT0_RKS9_EXadL_ZNS_23packed_gelu_tanh_kernelIS2_EES3_S5_EELb1ELb1ELb0ELb0EEEvPS3_PS4_if, .Lfunc_end41-_ZN4vllm18act_and_mul_kernelIf15HIP_vector_typeIfLj2EETnPFT_RKS3_EXadL_ZNS_16gelu_tanh_kernelIfEES3_S5_EETnPFT0_RKS9_EXadL_ZNS_23packed_gelu_tanh_kernelIS2_EES3_S5_EELb1ELb1ELb0ELb0EEEvPS3_PS4_if
                                        ; -- End function
	.section	.AMDGPU.csdata,"",@progbits
; Kernel info:
; codeLenInByte = 1268
; NumSgprs: 20
; NumVgprs: 30
; NumAgprs: 0
; TotalNumVgprs: 30
; ScratchSize: 0
; MemoryBound: 0
; FloatMode: 240
; IeeeMode: 1
; LDSByteSize: 0 bytes/workgroup (compile time only)
; SGPRBlocks: 2
; VGPRBlocks: 3
; NumSGPRsForWavesPerEU: 20
; NumVGPRsForWavesPerEU: 30
; AccumOffset: 32
; Occupancy: 8
; WaveLimiterHint : 0
; COMPUTE_PGM_RSRC2:SCRATCH_EN: 0
; COMPUTE_PGM_RSRC2:USER_SGPR: 6
; COMPUTE_PGM_RSRC2:TRAP_HANDLER: 0
; COMPUTE_PGM_RSRC2:TGID_X_EN: 1
; COMPUTE_PGM_RSRC2:TGID_Y_EN: 0
; COMPUTE_PGM_RSRC2:TGID_Z_EN: 0
; COMPUTE_PGM_RSRC2:TIDIG_COMP_CNT: 0
; COMPUTE_PGM_RSRC3_GFX90A:ACCUM_OFFSET: 7
; COMPUTE_PGM_RSRC3_GFX90A:TG_SPLIT: 0
	.section	.text._ZN4vllm18act_and_mul_kernelIN3c104HalfE7__half2TnPFT_RKS4_EXadL_ZNS_16gelu_tanh_kernelIS2_EES4_S6_EETnPFT0_RKSA_EXadL_ZNS_23packed_gelu_tanh_kernelIS3_EES4_S6_EELb1ELb1ELb0ELb0EEEvPS4_PS5_if,"axG",@progbits,_ZN4vllm18act_and_mul_kernelIN3c104HalfE7__half2TnPFT_RKS4_EXadL_ZNS_16gelu_tanh_kernelIS2_EES4_S6_EETnPFT0_RKSA_EXadL_ZNS_23packed_gelu_tanh_kernelIS3_EES4_S6_EELb1ELb1ELb0ELb0EEEvPS4_PS5_if,comdat
	.protected	_ZN4vllm18act_and_mul_kernelIN3c104HalfE7__half2TnPFT_RKS4_EXadL_ZNS_16gelu_tanh_kernelIS2_EES4_S6_EETnPFT0_RKSA_EXadL_ZNS_23packed_gelu_tanh_kernelIS3_EES4_S6_EELb1ELb1ELb0ELb0EEEvPS4_PS5_if ; -- Begin function _ZN4vllm18act_and_mul_kernelIN3c104HalfE7__half2TnPFT_RKS4_EXadL_ZNS_16gelu_tanh_kernelIS2_EES4_S6_EETnPFT0_RKSA_EXadL_ZNS_23packed_gelu_tanh_kernelIS3_EES4_S6_EELb1ELb1ELb0ELb0EEEvPS4_PS5_if
	.globl	_ZN4vllm18act_and_mul_kernelIN3c104HalfE7__half2TnPFT_RKS4_EXadL_ZNS_16gelu_tanh_kernelIS2_EES4_S6_EETnPFT0_RKSA_EXadL_ZNS_23packed_gelu_tanh_kernelIS3_EES4_S6_EELb1ELb1ELb0ELb0EEEvPS4_PS5_if
	.p2align	8
	.type	_ZN4vllm18act_and_mul_kernelIN3c104HalfE7__half2TnPFT_RKS4_EXadL_ZNS_16gelu_tanh_kernelIS2_EES4_S6_EETnPFT0_RKSA_EXadL_ZNS_23packed_gelu_tanh_kernelIS3_EES4_S6_EELb1ELb1ELb0ELb0EEEvPS4_PS5_if,@function
_ZN4vllm18act_and_mul_kernelIN3c104HalfE7__half2TnPFT_RKS4_EXadL_ZNS_16gelu_tanh_kernelIS2_EES4_S6_EETnPFT0_RKSA_EXadL_ZNS_23packed_gelu_tanh_kernelIS3_EES4_S6_EELb1ELb1ELb0ELb0EEEvPS4_PS5_if: ; @_ZN4vllm18act_and_mul_kernelIN3c104HalfE7__half2TnPFT_RKS4_EXadL_ZNS_16gelu_tanh_kernelIS2_EES4_S6_EETnPFT0_RKSA_EXadL_ZNS_23packed_gelu_tanh_kernelIS3_EES4_S6_EELb1ELb1ELb0ELb0EEEvPS4_PS5_if
; %bb.0:
	s_load_dword s0, s[4:5], 0x10
	s_waitcnt lgkmcnt(0)
	s_ashr_i32 s1, s0, 31
	s_lshr_b32 s2, s1, 29
	s_add_i32 s2, s0, s2
	s_ashr_i32 s7, s2, 3
	v_cmp_gt_i32_e32 vcc, s7, v0
	s_and_saveexec_b64 s[2:3], vcc
	s_cbranch_execz .LBB42_35
; %bb.1:
	s_load_dwordx4 s[12:15], s[4:5], 0x0
	s_load_dword s8, s[4:5], 0x24
	s_mul_i32 s2, s6, s0
	s_lshl_b32 s4, s2, 1
	s_mov_b32 s5, 0
	s_mov_b32 s3, s5
	s_waitcnt lgkmcnt(0)
	s_and_b32 s6, s8, 0xffff
	s_lshl_b64 s[4:5], s[4:5], 1
	s_add_u32 s4, s14, s4
	v_lshlrev_b32_e32 v2, 4, v0
	s_addc_u32 s5, s15, s5
	v_mov_b32_e32 v3, s5
	v_add_co_u32_e32 v1, vcc, s4, v2
	v_addc_co_u32_e32 v18, vcc, 0, v3, vcc
	s_lshl_b64 s[0:1], s[0:1], 1
	s_lshl_b32 s8, s6, 4
	v_mov_b32_e32 v3, s1
	v_add_co_u32_e32 v19, vcc, s0, v1
	s_lshl_b64 s[0:1], s[2:3], 1
	s_add_u32 s0, s12, s0
	v_addc_co_u32_e32 v20, vcc, v18, v3, vcc
	s_addc_u32 s1, s13, s1
	v_mov_b32_e32 v3, s1
	v_add_co_u32_e32 v21, vcc, s0, v2
	v_addc_co_u32_e32 v22, vcc, 0, v3, vcc
	s_mov_b64 s[0:1], 0
	s_mov_b32 s9, 0x3d372713
	s_mov_b32 s10, 0x3f200000
	;; [unrolled: 1-line block ×5, first 2 shown]
	v_mov_b32_e32 v23, 0xbd5c1c4e
	v_mov_b32_e32 v24, 0x3e088382
	;; [unrolled: 1-line block ×3, first 2 shown]
	s_brev_b32 s14, -2
	v_mov_b32_e32 v26, 0x7f800000
	s_mov_b64 s[2:3], 0
	s_branch .LBB42_3
.LBB42_2:                               ;   in Loop: Header=BB42_3 Depth=1
	s_or_b64 exec, exec, s[4:5]
	v_bfi_b32 v29, s14, v30, v29
	v_bfi_b32 v28, s14, v28, v27
	v_pk_mul_f32 v[10:11], v[10:11], 0.5 op_sel_hi:[1,0]
	v_pk_add_f32 v[28:29], v[28:29], 1.0 op_sel_hi:[1,0]
	v_pk_mul_f32 v[10:11], v[10:11], v[28:29]
	v_cvt_f16_f32_e32 v27, v11
	v_cvt_f16_f32_e32 v28, v10
	v_pk_mul_f32 v[10:11], v[12:13], 0.5 op_sel_hi:[1,0]
	v_bfi_b32 v13, s14, v34, v33
	v_bfi_b32 v12, s14, v32, v31
	v_pk_add_f32 v[12:13], v[12:13], 1.0 op_sel_hi:[1,0]
	v_pk_mul_f32 v[10:11], v[10:11], v[12:13]
	v_cvt_f16_f32_e32 v11, v11
	v_cvt_f16_f32_e32 v10, v10
	v_pack_b32_f16 v12, v28, v27
	s_waitcnt vmcnt(0)
	v_pk_mul_f16 v2, v12, v2
	v_pk_mul_f32 v[6:7], v[6:7], 0.5 op_sel_hi:[1,0]
	v_pack_b32_f16 v12, v10, v11
	v_bfi_b32 v11, s14, v37, v36
	v_bfi_b32 v10, s14, v35, v8
	v_pk_add_f32 v[10:11], v[10:11], 1.0 op_sel_hi:[1,0]
	v_pk_mul_f32 v[6:7], v[6:7], v[10:11]
	v_bfi_b32 v11, s14, v38, v17
	v_bfi_b32 v10, s14, v16, v9
	v_cvt_f16_f32_e32 v13, v7
	v_cvt_f16_f32_e32 v27, v6
	v_pk_mul_f32 v[6:7], v[14:15], 0.5 op_sel_hi:[1,0]
	v_pk_add_f32 v[8:9], v[10:11], 1.0 op_sel_hi:[1,0]
	v_pk_mul_f32 v[6:7], v[6:7], v[8:9]
	v_cvt_f16_f32_e32 v7, v7
	v_cvt_f16_f32_e32 v6, v6
	v_add_u32_e32 v0, s6, v0
	v_pack_b32_f16 v8, v27, v13
	v_pk_mul_f16 v3, v12, v3
	v_pack_b32_f16 v6, v6, v7
	v_pk_mul_f16 v5, v6, v5
	v_mov_b32_e32 v7, s3
	v_add_co_u32_e32 v6, vcc, s2, v21
	v_addc_co_u32_e32 v7, vcc, v22, v7, vcc
	s_add_u32 s2, s2, s8
	s_addc_u32 s3, s3, 0
	v_cmp_le_i32_e32 vcc, s7, v0
	v_pk_mul_f16 v4, v8, v4
	s_or_b64 s[0:1], vcc, s[0:1]
	global_store_dwordx4 v[6:7], v[2:5], off
	s_andn2_b64 exec, exec, s[0:1]
	s_cbranch_execz .LBB42_35
.LBB42_3:                               ; =>This Inner Loop Header: Depth=1
	v_mov_b32_e32 v4, s3
	v_add_co_u32_e32 v2, vcc, s2, v1
	v_addc_co_u32_e32 v3, vcc, v18, v4, vcc
	global_load_dwordx4 v[6:9], v[2:3], off
	v_add_co_u32_e32 v2, vcc, s2, v19
	v_addc_co_u32_e32 v3, vcc, v20, v4, vcc
	global_load_dwordx4 v[2:5], v[2:3], off
                                        ; implicit-def: $vgpr28
	s_waitcnt vmcnt(1)
	v_cvt_f32_f16_e32 v10, v6
	v_cvt_f32_f16_sdwa v11, v6 dst_sel:DWORD dst_unused:UNUSED_PAD src0_sel:WORD_1
	v_pk_mul_f32 v[12:13], v[10:11], v[10:11]
	v_pk_mul_f32 v[12:13], v[12:13], v[10:11]
	v_fma_mix_f32 v6, v12, s9, v6 op_sel_hi:[0,0,1]
	v_mul_f32_e32 v27, 0x3f4c422a, v6
	v_cmp_nlt_f32_e64 s[4:5], |v27|, s10
	s_and_saveexec_b64 s[16:17], s[4:5]
	s_xor_b64 s[4:5], exec, s[16:17]
	s_cbranch_execz .LBB42_5
; %bb.4:                                ;   in Loop: Header=BB42_3 Depth=1
	v_add_f32_e64 v6, |v27|, |v27|
	v_mul_f32_e32 v12, 0x3fb8aa3b, v6
	v_rndne_f32_e32 v14, v12
	v_sub_f32_e32 v15, v12, v14
	v_fma_f32 v12, v6, s11, -v12
	v_fmac_f32_e32 v12, 0x32a5705f, v6
	v_add_f32_e32 v12, v15, v12
	v_cvt_i32_f32_e32 v14, v14
	v_exp_f32_e32 v12, v12
	v_cmp_ngt_f32_e32 vcc, s12, v6
	v_ldexp_f32 v12, v12, v14
	v_cndmask_b32_e32 v12, 0, v12, vcc
	v_cmp_nlt_f32_e32 vcc, s13, v6
	v_cndmask_b32_e32 v6, v26, v12, vcc
	v_add_f32_e32 v6, 1.0, v6
	v_rcp_f32_e32 v6, v6
	v_fma_f32 v28, v6, -2.0, 1.0
.LBB42_5:                               ;   in Loop: Header=BB42_3 Depth=1
	s_andn2_saveexec_b64 s[4:5], s[4:5]
; %bb.6:                                ;   in Loop: Header=BB42_3 Depth=1
	v_mul_f32_e32 v6, v27, v27
	v_mov_b32_e32 v12, 0x3ca908c9
	v_fmac_f32_e32 v12, 0xbbbac73d, v6
	v_fma_f32 v12, v6, v12, v23
	v_fma_f32 v12, v6, v12, v24
	;; [unrolled: 1-line block ×3, first 2 shown]
	v_mul_f32_e64 v12, |v27|, v12
	v_fma_f32 v28, v6, v12, |v27|
; %bb.7:                                ;   in Loop: Header=BB42_3 Depth=1
	s_or_b64 exec, exec, s[4:5]
	v_mov_b32_e32 v6, v11
	v_fmac_f32_e32 v6, 0x3d372713, v13
	v_mul_f32_e32 v29, 0x3f4c422a, v6
	v_cmp_nlt_f32_e64 s[4:5], |v29|, s10
                                        ; implicit-def: $vgpr30
	s_and_saveexec_b64 s[16:17], s[4:5]
	s_xor_b64 s[4:5], exec, s[16:17]
	s_cbranch_execz .LBB42_9
; %bb.8:                                ;   in Loop: Header=BB42_3 Depth=1
	v_add_f32_e64 v6, |v29|, |v29|
	v_mul_f32_e32 v12, 0x3fb8aa3b, v6
	v_rndne_f32_e32 v13, v12
	v_sub_f32_e32 v14, v12, v13
	v_fma_f32 v12, v6, s11, -v12
	v_fmac_f32_e32 v12, 0x32a5705f, v6
	v_add_f32_e32 v12, v14, v12
	v_cvt_i32_f32_e32 v13, v13
	v_exp_f32_e32 v12, v12
	v_cmp_ngt_f32_e32 vcc, s12, v6
	v_ldexp_f32 v12, v12, v13
	v_cndmask_b32_e32 v12, 0, v12, vcc
	v_cmp_nlt_f32_e32 vcc, s13, v6
	v_cndmask_b32_e32 v6, v26, v12, vcc
	v_add_f32_e32 v6, 1.0, v6
	v_rcp_f32_e32 v6, v6
	v_fma_f32 v30, v6, -2.0, 1.0
.LBB42_9:                               ;   in Loop: Header=BB42_3 Depth=1
	s_andn2_saveexec_b64 s[4:5], s[4:5]
; %bb.10:                               ;   in Loop: Header=BB42_3 Depth=1
	v_mul_f32_e32 v6, v29, v29
	v_mov_b32_e32 v12, 0x3ca908c9
	v_fmac_f32_e32 v12, 0xbbbac73d, v6
	v_fma_f32 v12, v6, v12, v23
	v_fma_f32 v12, v6, v12, v24
	;; [unrolled: 1-line block ×3, first 2 shown]
	v_mul_f32_e64 v12, |v29|, v12
	v_fma_f32 v30, v6, v12, |v29|
; %bb.11:                               ;   in Loop: Header=BB42_3 Depth=1
	s_or_b64 exec, exec, s[4:5]
	v_cvt_f32_f16_sdwa v13, v7 dst_sel:DWORD dst_unused:UNUSED_PAD src0_sel:WORD_1
	v_cvt_f32_f16_e32 v12, v7
                                        ; implicit-def: $vgpr32
	v_pk_mul_f32 v[14:15], v[12:13], v[12:13]
	v_pk_mul_f32 v[14:15], v[14:15], v[12:13]
	v_fma_mix_f32 v6, v14, s9, v7 op_sel_hi:[0,0,1]
	v_mul_f32_e32 v31, 0x3f4c422a, v6
	v_cmp_nlt_f32_e64 s[4:5], |v31|, s10
	s_and_saveexec_b64 s[16:17], s[4:5]
	s_xor_b64 s[4:5], exec, s[16:17]
	s_cbranch_execz .LBB42_13
; %bb.12:                               ;   in Loop: Header=BB42_3 Depth=1
	v_add_f32_e64 v6, |v31|, |v31|
	v_mul_f32_e32 v7, 0x3fb8aa3b, v6
	v_rndne_f32_e32 v14, v7
	v_sub_f32_e32 v16, v7, v14
	v_fma_f32 v7, v6, s11, -v7
	v_fmac_f32_e32 v7, 0x32a5705f, v6
	v_add_f32_e32 v7, v16, v7
	v_cvt_i32_f32_e32 v14, v14
	v_exp_f32_e32 v7, v7
	v_cmp_ngt_f32_e32 vcc, s12, v6
	v_ldexp_f32 v7, v7, v14
	v_cndmask_b32_e32 v7, 0, v7, vcc
	v_cmp_nlt_f32_e32 vcc, s13, v6
	v_cndmask_b32_e32 v6, v26, v7, vcc
	v_add_f32_e32 v6, 1.0, v6
	v_rcp_f32_e32 v6, v6
	v_fma_f32 v32, v6, -2.0, 1.0
.LBB42_13:                              ;   in Loop: Header=BB42_3 Depth=1
	s_andn2_saveexec_b64 s[4:5], s[4:5]
; %bb.14:                               ;   in Loop: Header=BB42_3 Depth=1
	v_mul_f32_e32 v6, v31, v31
	v_mov_b32_e32 v7, 0x3ca908c9
	v_fmac_f32_e32 v7, 0xbbbac73d, v6
	v_fma_f32 v7, v6, v7, v23
	v_fma_f32 v7, v6, v7, v24
	;; [unrolled: 1-line block ×3, first 2 shown]
	v_mul_f32_e64 v7, |v31|, v7
	v_fma_f32 v32, v6, v7, |v31|
; %bb.15:                               ;   in Loop: Header=BB42_3 Depth=1
	s_or_b64 exec, exec, s[4:5]
	v_mov_b32_e32 v6, v13
	v_fmac_f32_e32 v6, 0x3d372713, v15
	v_mul_f32_e32 v33, 0x3f4c422a, v6
	v_cmp_nlt_f32_e64 s[4:5], |v33|, s10
                                        ; implicit-def: $vgpr34
	s_and_saveexec_b64 s[16:17], s[4:5]
	s_xor_b64 s[4:5], exec, s[16:17]
	s_cbranch_execz .LBB42_17
; %bb.16:                               ;   in Loop: Header=BB42_3 Depth=1
	v_add_f32_e64 v6, |v33|, |v33|
	v_mul_f32_e32 v7, 0x3fb8aa3b, v6
	v_rndne_f32_e32 v14, v7
	v_sub_f32_e32 v15, v7, v14
	v_fma_f32 v7, v6, s11, -v7
	v_fmac_f32_e32 v7, 0x32a5705f, v6
	v_add_f32_e32 v7, v15, v7
	v_cvt_i32_f32_e32 v14, v14
	v_exp_f32_e32 v7, v7
	v_cmp_ngt_f32_e32 vcc, s12, v6
	v_ldexp_f32 v7, v7, v14
	v_cndmask_b32_e32 v7, 0, v7, vcc
	v_cmp_nlt_f32_e32 vcc, s13, v6
	v_cndmask_b32_e32 v6, v26, v7, vcc
	v_add_f32_e32 v6, 1.0, v6
	v_rcp_f32_e32 v6, v6
	v_fma_f32 v34, v6, -2.0, 1.0
.LBB42_17:                              ;   in Loop: Header=BB42_3 Depth=1
	s_andn2_saveexec_b64 s[4:5], s[4:5]
; %bb.18:                               ;   in Loop: Header=BB42_3 Depth=1
	v_mul_f32_e32 v6, v33, v33
	v_mov_b32_e32 v7, 0x3ca908c9
	v_fmac_f32_e32 v7, 0xbbbac73d, v6
	v_fma_f32 v7, v6, v7, v23
	v_fma_f32 v7, v6, v7, v24
	;; [unrolled: 1-line block ×3, first 2 shown]
	v_mul_f32_e64 v7, |v33|, v7
	v_fma_f32 v34, v6, v7, |v33|
; %bb.19:                               ;   in Loop: Header=BB42_3 Depth=1
	s_or_b64 exec, exec, s[4:5]
	v_cvt_f32_f16_sdwa v7, v8 dst_sel:DWORD dst_unused:UNUSED_PAD src0_sel:WORD_1
	v_cvt_f32_f16_e32 v6, v8
                                        ; implicit-def: $vgpr35
	v_pk_mul_f32 v[14:15], v[6:7], v[6:7]
	v_pk_mul_f32 v[14:15], v[14:15], v[6:7]
	v_fma_mix_f32 v8, v14, s9, v8 op_sel_hi:[0,0,1]
	v_mul_f32_e32 v8, 0x3f4c422a, v8
	v_cmp_nlt_f32_e64 s[4:5], |v8|, s10
	s_and_saveexec_b64 s[16:17], s[4:5]
	s_xor_b64 s[4:5], exec, s[16:17]
	s_cbranch_execz .LBB42_21
; %bb.20:                               ;   in Loop: Header=BB42_3 Depth=1
	v_add_f32_e64 v14, |v8|, |v8|
	v_mul_f32_e32 v16, 0x3fb8aa3b, v14
	v_rndne_f32_e32 v17, v16
	v_sub_f32_e32 v35, v16, v17
	v_fma_f32 v16, v14, s11, -v16
	v_fmac_f32_e32 v16, 0x32a5705f, v14
	v_add_f32_e32 v16, v35, v16
	v_cvt_i32_f32_e32 v17, v17
	v_exp_f32_e32 v16, v16
	v_cmp_ngt_f32_e32 vcc, s12, v14
	v_ldexp_f32 v16, v16, v17
	v_cndmask_b32_e32 v16, 0, v16, vcc
	v_cmp_nlt_f32_e32 vcc, s13, v14
	v_cndmask_b32_e32 v14, v26, v16, vcc
	v_add_f32_e32 v14, 1.0, v14
	v_rcp_f32_e32 v14, v14
	v_fma_f32 v35, v14, -2.0, 1.0
.LBB42_21:                              ;   in Loop: Header=BB42_3 Depth=1
	s_andn2_saveexec_b64 s[4:5], s[4:5]
; %bb.22:                               ;   in Loop: Header=BB42_3 Depth=1
	v_mul_f32_e32 v14, v8, v8
	v_mov_b32_e32 v16, 0x3ca908c9
	v_fmac_f32_e32 v16, 0xbbbac73d, v14
	v_fma_f32 v16, v14, v16, v23
	v_fma_f32 v16, v14, v16, v24
	;; [unrolled: 1-line block ×3, first 2 shown]
	v_mul_f32_e64 v16, |v8|, v16
	v_fma_f32 v35, v14, v16, |v8|
; %bb.23:                               ;   in Loop: Header=BB42_3 Depth=1
	s_or_b64 exec, exec, s[4:5]
	v_mov_b32_e32 v14, v7
	v_fmac_f32_e32 v14, 0x3d372713, v15
	v_mul_f32_e32 v36, 0x3f4c422a, v14
	v_cmp_nlt_f32_e64 s[4:5], |v36|, s10
                                        ; implicit-def: $vgpr37
	s_and_saveexec_b64 s[16:17], s[4:5]
	s_xor_b64 s[4:5], exec, s[16:17]
	s_cbranch_execz .LBB42_25
; %bb.24:                               ;   in Loop: Header=BB42_3 Depth=1
	v_add_f32_e64 v14, |v36|, |v36|
	v_mul_f32_e32 v15, 0x3fb8aa3b, v14
	v_rndne_f32_e32 v16, v15
	v_sub_f32_e32 v17, v15, v16
	v_fma_f32 v15, v14, s11, -v15
	v_fmac_f32_e32 v15, 0x32a5705f, v14
	v_add_f32_e32 v15, v17, v15
	v_cvt_i32_f32_e32 v16, v16
	v_exp_f32_e32 v15, v15
	v_cmp_ngt_f32_e32 vcc, s12, v14
	v_ldexp_f32 v15, v15, v16
	v_cndmask_b32_e32 v15, 0, v15, vcc
	v_cmp_nlt_f32_e32 vcc, s13, v14
	v_cndmask_b32_e32 v14, v26, v15, vcc
	v_add_f32_e32 v14, 1.0, v14
	v_rcp_f32_e32 v14, v14
	v_fma_f32 v37, v14, -2.0, 1.0
.LBB42_25:                              ;   in Loop: Header=BB42_3 Depth=1
	s_andn2_saveexec_b64 s[4:5], s[4:5]
; %bb.26:                               ;   in Loop: Header=BB42_3 Depth=1
	v_mul_f32_e32 v14, v36, v36
	v_mov_b32_e32 v15, 0x3ca908c9
	v_fmac_f32_e32 v15, 0xbbbac73d, v14
	v_fma_f32 v15, v14, v15, v23
	v_fma_f32 v15, v14, v15, v24
	;; [unrolled: 1-line block ×3, first 2 shown]
	v_mul_f32_e64 v15, |v36|, v15
	v_fma_f32 v37, v14, v15, |v36|
; %bb.27:                               ;   in Loop: Header=BB42_3 Depth=1
	s_or_b64 exec, exec, s[4:5]
	v_cvt_f32_f16_sdwa v15, v9 dst_sel:DWORD dst_unused:UNUSED_PAD src0_sel:WORD_1
	v_cvt_f32_f16_e32 v14, v9
	v_pk_mul_f32 v[16:17], v[14:15], v[14:15]
	v_pk_mul_f32 v[16:17], v[16:17], v[14:15]
	v_fma_mix_f32 v9, v16, s9, v9 op_sel_hi:[0,0,1]
	v_mul_f32_e32 v9, 0x3f4c422a, v9
	v_cmp_nlt_f32_e64 s[4:5], |v9|, s10
                                        ; implicit-def: $vgpr16
	s_and_saveexec_b64 s[16:17], s[4:5]
	s_xor_b64 s[4:5], exec, s[16:17]
	s_cbranch_execz .LBB42_29
; %bb.28:                               ;   in Loop: Header=BB42_3 Depth=1
	v_add_f32_e64 v16, |v9|, |v9|
	v_mul_f32_e32 v38, 0x3fb8aa3b, v16
	v_rndne_f32_e32 v39, v38
	v_sub_f32_e32 v40, v38, v39
	v_fma_f32 v38, v16, s11, -v38
	v_fmac_f32_e32 v38, 0x32a5705f, v16
	v_add_f32_e32 v38, v40, v38
	v_cvt_i32_f32_e32 v39, v39
	v_exp_f32_e32 v38, v38
	v_cmp_ngt_f32_e32 vcc, s12, v16
	v_ldexp_f32 v38, v38, v39
	v_cndmask_b32_e32 v38, 0, v38, vcc
	v_cmp_nlt_f32_e32 vcc, s13, v16
	v_cndmask_b32_e32 v16, v26, v38, vcc
	v_add_f32_e32 v16, 1.0, v16
	v_rcp_f32_e32 v16, v16
	v_fma_f32 v16, v16, -2.0, 1.0
.LBB42_29:                              ;   in Loop: Header=BB42_3 Depth=1
	s_andn2_saveexec_b64 s[4:5], s[4:5]
; %bb.30:                               ;   in Loop: Header=BB42_3 Depth=1
	v_mul_f32_e32 v16, v9, v9
	v_mov_b32_e32 v38, 0x3ca908c9
	v_fmac_f32_e32 v38, 0xbbbac73d, v16
	v_fma_f32 v38, v16, v38, v23
	v_fma_f32 v38, v16, v38, v24
	;; [unrolled: 1-line block ×3, first 2 shown]
	v_mul_f32_e64 v38, |v9|, v38
	v_fma_f32 v16, v16, v38, |v9|
; %bb.31:                               ;   in Loop: Header=BB42_3 Depth=1
	s_or_b64 exec, exec, s[4:5]
	v_mov_b32_e32 v38, v15
	v_fmac_f32_e32 v38, 0x3d372713, v17
	v_mul_f32_e32 v17, 0x3f4c422a, v38
	v_cmp_nlt_f32_e64 s[4:5], |v17|, s10
                                        ; implicit-def: $vgpr38
	s_and_saveexec_b64 s[16:17], s[4:5]
	s_xor_b64 s[4:5], exec, s[16:17]
	s_cbranch_execz .LBB42_33
; %bb.32:                               ;   in Loop: Header=BB42_3 Depth=1
	v_add_f32_e64 v38, |v17|, |v17|
	v_mul_f32_e32 v39, 0x3fb8aa3b, v38
	v_rndne_f32_e32 v40, v39
	v_sub_f32_e32 v41, v39, v40
	v_fma_f32 v39, v38, s11, -v39
	v_fmac_f32_e32 v39, 0x32a5705f, v38
	v_add_f32_e32 v39, v41, v39
	v_cvt_i32_f32_e32 v40, v40
	v_exp_f32_e32 v39, v39
	v_cmp_ngt_f32_e32 vcc, s12, v38
	v_ldexp_f32 v39, v39, v40
	v_cndmask_b32_e32 v39, 0, v39, vcc
	v_cmp_nlt_f32_e32 vcc, s13, v38
	v_cndmask_b32_e32 v38, v26, v39, vcc
	v_add_f32_e32 v38, 1.0, v38
	v_rcp_f32_e32 v38, v38
	v_fma_f32 v38, v38, -2.0, 1.0
.LBB42_33:                              ;   in Loop: Header=BB42_3 Depth=1
	s_andn2_saveexec_b64 s[4:5], s[4:5]
	s_cbranch_execz .LBB42_2
; %bb.34:                               ;   in Loop: Header=BB42_3 Depth=1
	v_mul_f32_e32 v38, v17, v17
	v_mov_b32_e32 v39, 0x3ca908c9
	v_fmac_f32_e32 v39, 0xbbbac73d, v38
	v_fma_f32 v39, v38, v39, v23
	v_fma_f32 v39, v38, v39, v24
	;; [unrolled: 1-line block ×3, first 2 shown]
	v_mul_f32_e64 v39, |v17|, v39
	v_fma_f32 v38, v38, v39, |v17|
	s_branch .LBB42_2
.LBB42_35:
	s_endpgm
	.section	.rodata,"a",@progbits
	.p2align	6, 0x0
	.amdhsa_kernel _ZN4vllm18act_and_mul_kernelIN3c104HalfE7__half2TnPFT_RKS4_EXadL_ZNS_16gelu_tanh_kernelIS2_EES4_S6_EETnPFT0_RKSA_EXadL_ZNS_23packed_gelu_tanh_kernelIS3_EES4_S6_EELb1ELb1ELb0ELb0EEEvPS4_PS5_if
		.amdhsa_group_segment_fixed_size 0
		.amdhsa_private_segment_fixed_size 0
		.amdhsa_kernarg_size 280
		.amdhsa_user_sgpr_count 6
		.amdhsa_user_sgpr_private_segment_buffer 1
		.amdhsa_user_sgpr_dispatch_ptr 0
		.amdhsa_user_sgpr_queue_ptr 0
		.amdhsa_user_sgpr_kernarg_segment_ptr 1
		.amdhsa_user_sgpr_dispatch_id 0
		.amdhsa_user_sgpr_flat_scratch_init 0
		.amdhsa_user_sgpr_kernarg_preload_length 0
		.amdhsa_user_sgpr_kernarg_preload_offset 0
		.amdhsa_user_sgpr_private_segment_size 0
		.amdhsa_uses_dynamic_stack 0
		.amdhsa_system_sgpr_private_segment_wavefront_offset 0
		.amdhsa_system_sgpr_workgroup_id_x 1
		.amdhsa_system_sgpr_workgroup_id_y 0
		.amdhsa_system_sgpr_workgroup_id_z 0
		.amdhsa_system_sgpr_workgroup_info 0
		.amdhsa_system_vgpr_workitem_id 0
		.amdhsa_next_free_vgpr 42
		.amdhsa_next_free_sgpr 18
		.amdhsa_accum_offset 44
		.amdhsa_reserve_vcc 1
		.amdhsa_reserve_flat_scratch 0
		.amdhsa_float_round_mode_32 0
		.amdhsa_float_round_mode_16_64 0
		.amdhsa_float_denorm_mode_32 3
		.amdhsa_float_denorm_mode_16_64 3
		.amdhsa_dx10_clamp 1
		.amdhsa_ieee_mode 1
		.amdhsa_fp16_overflow 0
		.amdhsa_tg_split 0
		.amdhsa_exception_fp_ieee_invalid_op 0
		.amdhsa_exception_fp_denorm_src 0
		.amdhsa_exception_fp_ieee_div_zero 0
		.amdhsa_exception_fp_ieee_overflow 0
		.amdhsa_exception_fp_ieee_underflow 0
		.amdhsa_exception_fp_ieee_inexact 0
		.amdhsa_exception_int_div_zero 0
	.end_amdhsa_kernel
	.section	.text._ZN4vllm18act_and_mul_kernelIN3c104HalfE7__half2TnPFT_RKS4_EXadL_ZNS_16gelu_tanh_kernelIS2_EES4_S6_EETnPFT0_RKSA_EXadL_ZNS_23packed_gelu_tanh_kernelIS3_EES4_S6_EELb1ELb1ELb0ELb0EEEvPS4_PS5_if,"axG",@progbits,_ZN4vllm18act_and_mul_kernelIN3c104HalfE7__half2TnPFT_RKS4_EXadL_ZNS_16gelu_tanh_kernelIS2_EES4_S6_EETnPFT0_RKSA_EXadL_ZNS_23packed_gelu_tanh_kernelIS3_EES4_S6_EELb1ELb1ELb0ELb0EEEvPS4_PS5_if,comdat
.Lfunc_end42:
	.size	_ZN4vllm18act_and_mul_kernelIN3c104HalfE7__half2TnPFT_RKS4_EXadL_ZNS_16gelu_tanh_kernelIS2_EES4_S6_EETnPFT0_RKSA_EXadL_ZNS_23packed_gelu_tanh_kernelIS3_EES4_S6_EELb1ELb1ELb0ELb0EEEvPS4_PS5_if, .Lfunc_end42-_ZN4vllm18act_and_mul_kernelIN3c104HalfE7__half2TnPFT_RKS4_EXadL_ZNS_16gelu_tanh_kernelIS2_EES4_S6_EETnPFT0_RKSA_EXadL_ZNS_23packed_gelu_tanh_kernelIS3_EES4_S6_EELb1ELb1ELb0ELb0EEEvPS4_PS5_if
                                        ; -- End function
	.section	.AMDGPU.csdata,"",@progbits
; Kernel info:
; codeLenInByte = 2300
; NumSgprs: 22
; NumVgprs: 42
; NumAgprs: 0
; TotalNumVgprs: 42
; ScratchSize: 0
; MemoryBound: 0
; FloatMode: 240
; IeeeMode: 1
; LDSByteSize: 0 bytes/workgroup (compile time only)
; SGPRBlocks: 2
; VGPRBlocks: 5
; NumSGPRsForWavesPerEU: 22
; NumVGPRsForWavesPerEU: 42
; AccumOffset: 44
; Occupancy: 8
; WaveLimiterHint : 0
; COMPUTE_PGM_RSRC2:SCRATCH_EN: 0
; COMPUTE_PGM_RSRC2:USER_SGPR: 6
; COMPUTE_PGM_RSRC2:TRAP_HANDLER: 0
; COMPUTE_PGM_RSRC2:TGID_X_EN: 1
; COMPUTE_PGM_RSRC2:TGID_Y_EN: 0
; COMPUTE_PGM_RSRC2:TGID_Z_EN: 0
; COMPUTE_PGM_RSRC2:TIDIG_COMP_CNT: 0
; COMPUTE_PGM_RSRC3_GFX90A:ACCUM_OFFSET: 10
; COMPUTE_PGM_RSRC3_GFX90A:TG_SPLIT: 0
	.section	.text._ZN4vllm18act_and_mul_kernelIN3c108BFloat16E15__hip_bfloat162TnPFT_RKS4_EXadL_ZNS_16gelu_tanh_kernelIS2_EES4_S6_EETnPFT0_RKSA_EXadL_ZNS_23packed_gelu_tanh_kernelIS3_EES4_S6_EELb1ELb1ELb0ELb0EEEvPS4_PS5_if,"axG",@progbits,_ZN4vllm18act_and_mul_kernelIN3c108BFloat16E15__hip_bfloat162TnPFT_RKS4_EXadL_ZNS_16gelu_tanh_kernelIS2_EES4_S6_EETnPFT0_RKSA_EXadL_ZNS_23packed_gelu_tanh_kernelIS3_EES4_S6_EELb1ELb1ELb0ELb0EEEvPS4_PS5_if,comdat
	.protected	_ZN4vllm18act_and_mul_kernelIN3c108BFloat16E15__hip_bfloat162TnPFT_RKS4_EXadL_ZNS_16gelu_tanh_kernelIS2_EES4_S6_EETnPFT0_RKSA_EXadL_ZNS_23packed_gelu_tanh_kernelIS3_EES4_S6_EELb1ELb1ELb0ELb0EEEvPS4_PS5_if ; -- Begin function _ZN4vllm18act_and_mul_kernelIN3c108BFloat16E15__hip_bfloat162TnPFT_RKS4_EXadL_ZNS_16gelu_tanh_kernelIS2_EES4_S6_EETnPFT0_RKSA_EXadL_ZNS_23packed_gelu_tanh_kernelIS3_EES4_S6_EELb1ELb1ELb0ELb0EEEvPS4_PS5_if
	.globl	_ZN4vllm18act_and_mul_kernelIN3c108BFloat16E15__hip_bfloat162TnPFT_RKS4_EXadL_ZNS_16gelu_tanh_kernelIS2_EES4_S6_EETnPFT0_RKSA_EXadL_ZNS_23packed_gelu_tanh_kernelIS3_EES4_S6_EELb1ELb1ELb0ELb0EEEvPS4_PS5_if
	.p2align	8
	.type	_ZN4vllm18act_and_mul_kernelIN3c108BFloat16E15__hip_bfloat162TnPFT_RKS4_EXadL_ZNS_16gelu_tanh_kernelIS2_EES4_S6_EETnPFT0_RKSA_EXadL_ZNS_23packed_gelu_tanh_kernelIS3_EES4_S6_EELb1ELb1ELb0ELb0EEEvPS4_PS5_if,@function
_ZN4vllm18act_and_mul_kernelIN3c108BFloat16E15__hip_bfloat162TnPFT_RKS4_EXadL_ZNS_16gelu_tanh_kernelIS2_EES4_S6_EETnPFT0_RKSA_EXadL_ZNS_23packed_gelu_tanh_kernelIS3_EES4_S6_EELb1ELb1ELb0ELb0EEEvPS4_PS5_if: ; @_ZN4vllm18act_and_mul_kernelIN3c108BFloat16E15__hip_bfloat162TnPFT_RKS4_EXadL_ZNS_16gelu_tanh_kernelIS2_EES4_S6_EETnPFT0_RKSA_EXadL_ZNS_23packed_gelu_tanh_kernelIS3_EES4_S6_EELb1ELb1ELb0ELb0EEEvPS4_PS5_if
; %bb.0:
	s_load_dword s0, s[4:5], 0x10
	s_waitcnt lgkmcnt(0)
	s_ashr_i32 s1, s0, 31
	s_lshr_b32 s2, s1, 29
	s_add_i32 s2, s0, s2
	s_ashr_i32 s7, s2, 3
	v_cmp_gt_i32_e32 vcc, s7, v0
	s_and_saveexec_b64 s[2:3], vcc
	s_cbranch_execz .LBB43_99
; %bb.1:
	s_load_dwordx4 s[12:15], s[4:5], 0x0
	s_load_dword s8, s[4:5], 0x24
	s_mul_i32 s2, s6, s0
	s_lshl_b32 s4, s2, 1
	s_mov_b32 s5, 0
	s_mov_b32 s3, s5
	s_waitcnt lgkmcnt(0)
	s_and_b32 s6, s8, 0xffff
	s_lshl_b64 s[4:5], s[4:5], 1
	s_add_u32 s4, s14, s4
	v_lshlrev_b32_e32 v2, 4, v0
	s_addc_u32 s5, s15, s5
	v_mov_b32_e32 v3, s5
	v_add_co_u32_e32 v1, vcc, s4, v2
	v_addc_co_u32_e32 v10, vcc, 0, v3, vcc
	s_lshl_b64 s[0:1], s[0:1], 1
	s_lshl_b32 s8, s6, 4
	v_mov_b32_e32 v3, s1
	v_add_co_u32_e32 v11, vcc, s0, v1
	s_lshl_b64 s[0:1], s[2:3], 1
	s_add_u32 s0, s12, s0
	v_addc_co_u32_e32 v12, vcc, v10, v3, vcc
	s_addc_u32 s1, s13, s1
	v_mov_b32_e32 v3, s1
	v_add_co_u32_e32 v13, vcc, s0, v2
	v_addc_co_u32_e32 v14, vcc, 0, v3, vcc
	s_mov_b64 s[0:1], 0
	s_mov_b32 s9, 0x3f200000
	s_mov_b32 s10, 0x3fb8aa3b
	;; [unrolled: 1-line block ×5, first 2 shown]
	v_mov_b32_e32 v15, 0xbd5c1c4e
	v_mov_b32_e32 v16, 0x3e088382
	;; [unrolled: 1-line block ×3, first 2 shown]
	s_brev_b32 s14, -2
	s_movk_i32 s15, 0x7fff
	s_mov_b32 s16, 0x7060302
	v_mov_b32_e32 v18, 0x7f800000
	v_mov_b32_e32 v19, 0
	s_mov_b64 s[2:3], 0
	s_branch .LBB43_3
.LBB43_2:                               ;   in Loop: Header=BB43_3 Depth=1
	s_or_b64 exec, exec, s[4:5]
	v_perm_b32 v3, v3, v7, s16
	v_perm_b32 v2, v2, v6, s16
	v_mov_b32_e32 v7, s3
	v_add_co_u32_e32 v6, vcc, s2, v13
	v_addc_co_u32_e32 v7, vcc, v14, v7, vcc
	v_add_u32_e32 v0, s6, v0
	s_add_u32 s2, s2, s8
	s_addc_u32 s3, s3, 0
	v_cmp_le_i32_e32 vcc, s7, v0
	v_perm_b32 v5, v9, v20, s16
	v_perm_b32 v4, v4, v8, s16
	s_or_b64 s[0:1], vcc, s[0:1]
	global_store_dwordx4 v[6:7], v[2:5], off
	s_andn2_b64 exec, exec, s[0:1]
	s_cbranch_execz .LBB43_99
.LBB43_3:                               ; =>This Inner Loop Header: Depth=1
	v_mov_b32_e32 v4, s3
	v_add_co_u32_e32 v2, vcc, s2, v1
	v_addc_co_u32_e32 v3, vcc, v10, v4, vcc
	global_load_dwordx4 v[6:9], v[2:3], off
	v_add_co_u32_e32 v2, vcc, s2, v11
	v_addc_co_u32_e32 v3, vcc, v12, v4, vcc
	global_load_dwordx4 v[2:5], v[2:3], off
                                        ; implicit-def: $vgpr23
	s_waitcnt vmcnt(1)
	v_lshlrev_b32_e32 v20, 16, v6
	v_mul_f32_e32 v21, v20, v20
	v_mul_f32_e32 v21, v21, v20
	v_mov_b32_e32 v22, v20
	v_fmac_f32_e32 v22, 0x3d372713, v21
	v_mul_f32_e32 v21, 0x3f4c422a, v22
	v_cmp_nlt_f32_e64 s[4:5], |v21|, s9
	s_and_saveexec_b64 s[18:19], s[4:5]
	s_xor_b64 s[4:5], exec, s[18:19]
	s_cbranch_execz .LBB43_5
; %bb.4:                                ;   in Loop: Header=BB43_3 Depth=1
	v_add_f32_e64 v22, |v21|, |v21|
	v_mul_f32_e32 v23, 0x3fb8aa3b, v22
	v_rndne_f32_e32 v24, v23
	v_sub_f32_e32 v25, v23, v24
	v_fma_f32 v23, v22, s10, -v23
	v_fmac_f32_e32 v23, 0x32a5705f, v22
	v_add_f32_e32 v23, v25, v23
	v_cvt_i32_f32_e32 v24, v24
	v_exp_f32_e32 v23, v23
	v_cmp_ngt_f32_e32 vcc, s11, v22
	v_ldexp_f32 v23, v23, v24
	v_cndmask_b32_e32 v23, 0, v23, vcc
	v_cmp_nlt_f32_e32 vcc, s12, v22
	v_cndmask_b32_e32 v22, v18, v23, vcc
	v_add_f32_e32 v22, 1.0, v22
	v_rcp_f32_e32 v22, v22
	v_fma_f32 v23, v22, -2.0, 1.0
.LBB43_5:                               ;   in Loop: Header=BB43_3 Depth=1
	s_andn2_saveexec_b64 s[4:5], s[4:5]
; %bb.6:                                ;   in Loop: Header=BB43_3 Depth=1
	v_mul_f32_e32 v22, v21, v21
	v_mov_b32_e32 v23, 0x3ca908c9
	v_fmac_f32_e32 v23, 0xbbbac73d, v22
	v_fma_f32 v23, v22, v23, v15
	v_fma_f32 v23, v22, v23, v16
	;; [unrolled: 1-line block ×3, first 2 shown]
	v_mul_f32_e64 v23, |v21|, v23
	v_fma_f32 v23, v22, v23, |v21|
; %bb.7:                                ;   in Loop: Header=BB43_3 Depth=1
	s_or_b64 exec, exec, s[4:5]
	v_and_b32_e32 v6, 0xffff0000, v6
	v_mul_f32_e32 v22, v6, v6
	v_mul_f32_e32 v22, v22, v6
	v_mov_b32_e32 v24, v6
	v_fmac_f32_e32 v24, 0x3d372713, v22
	v_mul_f32_e32 v22, 0x3f4c422a, v24
	v_cmp_nlt_f32_e64 s[4:5], |v22|, s9
                                        ; implicit-def: $vgpr24
	s_and_saveexec_b64 s[18:19], s[4:5]
	s_xor_b64 s[4:5], exec, s[18:19]
	s_cbranch_execz .LBB43_9
; %bb.8:                                ;   in Loop: Header=BB43_3 Depth=1
	v_add_f32_e64 v24, |v22|, |v22|
	v_mul_f32_e32 v25, 0x3fb8aa3b, v24
	v_rndne_f32_e32 v26, v25
	v_sub_f32_e32 v27, v25, v26
	v_fma_f32 v25, v24, s10, -v25
	v_fmac_f32_e32 v25, 0x32a5705f, v24
	v_add_f32_e32 v25, v27, v25
	v_cvt_i32_f32_e32 v26, v26
	v_exp_f32_e32 v25, v25
	v_cmp_ngt_f32_e32 vcc, s11, v24
	v_ldexp_f32 v25, v25, v26
	v_cndmask_b32_e32 v25, 0, v25, vcc
	v_cmp_nlt_f32_e32 vcc, s12, v24
	v_cndmask_b32_e32 v24, v18, v25, vcc
	v_add_f32_e32 v24, 1.0, v24
	v_rcp_f32_e32 v24, v24
	v_fma_f32 v24, v24, -2.0, 1.0
.LBB43_9:                               ;   in Loop: Header=BB43_3 Depth=1
	s_andn2_saveexec_b64 s[4:5], s[4:5]
; %bb.10:                               ;   in Loop: Header=BB43_3 Depth=1
	v_mul_f32_e32 v24, v22, v22
	v_mov_b32_e32 v25, 0x3ca908c9
	v_fmac_f32_e32 v25, 0xbbbac73d, v24
	v_fma_f32 v25, v24, v25, v15
	v_fma_f32 v25, v24, v25, v16
	;; [unrolled: 1-line block ×3, first 2 shown]
	v_mul_f32_e64 v25, |v22|, v25
	v_fma_f32 v24, v24, v25, |v22|
; %bb.11:                               ;   in Loop: Header=BB43_3 Depth=1
	s_or_b64 exec, exec, s[4:5]
	v_bfi_b32 v21, s14, v23, v21
	v_mul_f32_e32 v20, 0.5, v20
	v_add_f32_e32 v21, 1.0, v21
	v_mul_f32_e32 v21, v20, v21
	v_and_b32_e32 v20, 0x7f800000, v21
	v_cmp_ne_u32_e32 vcc, s13, v20
                                        ; implicit-def: $vgpr20
	s_and_saveexec_b64 s[4:5], vcc
	s_xor_b64 s[4:5], exec, s[4:5]
; %bb.12:                               ;   in Loop: Header=BB43_3 Depth=1
	v_bfe_u32 v20, v21, 16, 1
	v_add3_u32 v20, v21, v20, s15
                                        ; implicit-def: $vgpr21
; %bb.13:                               ;   in Loop: Header=BB43_3 Depth=1
	s_andn2_saveexec_b64 s[4:5], s[4:5]
; %bb.14:                               ;   in Loop: Header=BB43_3 Depth=1
	v_or_b32_e32 v20, 0x10000, v21
	v_cmp_eq_u32_sdwa vcc, v21, v19 src0_sel:WORD_0 src1_sel:DWORD
	v_cndmask_b32_e32 v20, v20, v21, vcc
; %bb.15:                               ;   in Loop: Header=BB43_3 Depth=1
	s_or_b64 exec, exec, s[4:5]
	v_bfi_b32 v21, s14, v24, v22
	v_mul_f32_e32 v6, 0.5, v6
	v_add_f32_e32 v21, 1.0, v21
	v_mul_f32_e32 v6, v6, v21
	v_and_b32_e32 v21, 0x7f800000, v6
	v_cmp_ne_u32_e32 vcc, s13, v21
                                        ; implicit-def: $vgpr21
	s_and_saveexec_b64 s[4:5], vcc
	s_xor_b64 s[4:5], exec, s[4:5]
; %bb.16:                               ;   in Loop: Header=BB43_3 Depth=1
	v_bfe_u32 v21, v6, 16, 1
	v_add3_u32 v21, v6, v21, s15
                                        ; implicit-def: $vgpr6
; %bb.17:                               ;   in Loop: Header=BB43_3 Depth=1
	s_andn2_saveexec_b64 s[4:5], s[4:5]
; %bb.18:                               ;   in Loop: Header=BB43_3 Depth=1
	v_or_b32_e32 v21, 0x10000, v6
	v_cmp_eq_u32_sdwa vcc, v6, v19 src0_sel:WORD_0 src1_sel:DWORD
	v_cndmask_b32_e32 v21, v21, v6, vcc
; %bb.19:                               ;   in Loop: Header=BB43_3 Depth=1
	s_or_b64 exec, exec, s[4:5]
	v_and_b32_e32 v6, 0xffff0000, v20
	s_waitcnt vmcnt(0)
	v_lshlrev_b32_e32 v20, 16, v2
	v_mul_f32_e32 v20, v20, v6
	v_and_b32_e32 v6, 0x7f800000, v20
	v_cmp_ne_u32_e32 vcc, s13, v6
                                        ; implicit-def: $vgpr6
	s_and_saveexec_b64 s[4:5], vcc
	s_xor_b64 s[4:5], exec, s[4:5]
; %bb.20:                               ;   in Loop: Header=BB43_3 Depth=1
	v_bfe_u32 v6, v20, 16, 1
	v_add3_u32 v6, v20, v6, s15
                                        ; implicit-def: $vgpr20
; %bb.21:                               ;   in Loop: Header=BB43_3 Depth=1
	s_andn2_saveexec_b64 s[4:5], s[4:5]
; %bb.22:                               ;   in Loop: Header=BB43_3 Depth=1
	v_or_b32_e32 v6, 0x10000, v20
	v_cmp_eq_u32_sdwa vcc, v20, v19 src0_sel:WORD_0 src1_sel:DWORD
	v_cndmask_b32_e32 v6, v6, v20, vcc
; %bb.23:                               ;   in Loop: Header=BB43_3 Depth=1
	s_or_b64 exec, exec, s[4:5]
	v_and_b32_e32 v20, 0xffff0000, v21
	v_and_b32_e32 v2, 0xffff0000, v2
	v_mul_f32_e32 v20, v2, v20
	v_and_b32_e32 v2, 0x7f800000, v20
	v_cmp_ne_u32_e32 vcc, s13, v2
                                        ; implicit-def: $vgpr2
	s_and_saveexec_b64 s[4:5], vcc
	s_xor_b64 s[4:5], exec, s[4:5]
; %bb.24:                               ;   in Loop: Header=BB43_3 Depth=1
	v_bfe_u32 v2, v20, 16, 1
	v_add3_u32 v2, v20, v2, s15
                                        ; implicit-def: $vgpr20
; %bb.25:                               ;   in Loop: Header=BB43_3 Depth=1
	s_andn2_saveexec_b64 s[4:5], s[4:5]
; %bb.26:                               ;   in Loop: Header=BB43_3 Depth=1
	v_or_b32_e32 v2, 0x10000, v20
	v_cmp_eq_u32_sdwa vcc, v20, v19 src0_sel:WORD_0 src1_sel:DWORD
	v_cndmask_b32_e32 v2, v2, v20, vcc
; %bb.27:                               ;   in Loop: Header=BB43_3 Depth=1
	s_or_b64 exec, exec, s[4:5]
	v_lshlrev_b32_e32 v20, 16, v7
	v_mul_f32_e32 v21, v20, v20
	v_mul_f32_e32 v21, v21, v20
	v_mov_b32_e32 v22, v20
	v_fmac_f32_e32 v22, 0x3d372713, v21
	v_mul_f32_e32 v21, 0x3f4c422a, v22
	v_cmp_nlt_f32_e64 s[4:5], |v21|, s9
                                        ; implicit-def: $vgpr23
	s_and_saveexec_b64 s[18:19], s[4:5]
	s_xor_b64 s[4:5], exec, s[18:19]
	s_cbranch_execz .LBB43_29
; %bb.28:                               ;   in Loop: Header=BB43_3 Depth=1
	v_add_f32_e64 v22, |v21|, |v21|
	v_mul_f32_e32 v23, 0x3fb8aa3b, v22
	v_rndne_f32_e32 v24, v23
	v_sub_f32_e32 v25, v23, v24
	v_fma_f32 v23, v22, s10, -v23
	v_fmac_f32_e32 v23, 0x32a5705f, v22
	v_add_f32_e32 v23, v25, v23
	v_cvt_i32_f32_e32 v24, v24
	v_exp_f32_e32 v23, v23
	v_cmp_ngt_f32_e32 vcc, s11, v22
	v_ldexp_f32 v23, v23, v24
	v_cndmask_b32_e32 v23, 0, v23, vcc
	v_cmp_nlt_f32_e32 vcc, s12, v22
	v_cndmask_b32_e32 v22, v18, v23, vcc
	v_add_f32_e32 v22, 1.0, v22
	v_rcp_f32_e32 v22, v22
	v_fma_f32 v23, v22, -2.0, 1.0
.LBB43_29:                              ;   in Loop: Header=BB43_3 Depth=1
	s_andn2_saveexec_b64 s[4:5], s[4:5]
; %bb.30:                               ;   in Loop: Header=BB43_3 Depth=1
	v_mul_f32_e32 v22, v21, v21
	v_mov_b32_e32 v23, 0x3ca908c9
	v_fmac_f32_e32 v23, 0xbbbac73d, v22
	v_fma_f32 v23, v22, v23, v15
	v_fma_f32 v23, v22, v23, v16
	;; [unrolled: 1-line block ×3, first 2 shown]
	v_mul_f32_e64 v23, |v21|, v23
	v_fma_f32 v23, v22, v23, |v21|
; %bb.31:                               ;   in Loop: Header=BB43_3 Depth=1
	s_or_b64 exec, exec, s[4:5]
	v_and_b32_e32 v7, 0xffff0000, v7
	v_mul_f32_e32 v22, v7, v7
	v_mul_f32_e32 v22, v22, v7
	v_mov_b32_e32 v24, v7
	v_fmac_f32_e32 v24, 0x3d372713, v22
	v_mul_f32_e32 v22, 0x3f4c422a, v24
	v_cmp_nlt_f32_e64 s[4:5], |v22|, s9
                                        ; implicit-def: $vgpr24
	s_and_saveexec_b64 s[18:19], s[4:5]
	s_xor_b64 s[4:5], exec, s[18:19]
	s_cbranch_execz .LBB43_33
; %bb.32:                               ;   in Loop: Header=BB43_3 Depth=1
	v_add_f32_e64 v24, |v22|, |v22|
	v_mul_f32_e32 v25, 0x3fb8aa3b, v24
	v_rndne_f32_e32 v26, v25
	v_sub_f32_e32 v27, v25, v26
	v_fma_f32 v25, v24, s10, -v25
	v_fmac_f32_e32 v25, 0x32a5705f, v24
	v_add_f32_e32 v25, v27, v25
	v_cvt_i32_f32_e32 v26, v26
	v_exp_f32_e32 v25, v25
	v_cmp_ngt_f32_e32 vcc, s11, v24
	v_ldexp_f32 v25, v25, v26
	v_cndmask_b32_e32 v25, 0, v25, vcc
	v_cmp_nlt_f32_e32 vcc, s12, v24
	v_cndmask_b32_e32 v24, v18, v25, vcc
	v_add_f32_e32 v24, 1.0, v24
	v_rcp_f32_e32 v24, v24
	v_fma_f32 v24, v24, -2.0, 1.0
.LBB43_33:                              ;   in Loop: Header=BB43_3 Depth=1
	s_andn2_saveexec_b64 s[4:5], s[4:5]
; %bb.34:                               ;   in Loop: Header=BB43_3 Depth=1
	v_mul_f32_e32 v24, v22, v22
	v_mov_b32_e32 v25, 0x3ca908c9
	v_fmac_f32_e32 v25, 0xbbbac73d, v24
	v_fma_f32 v25, v24, v25, v15
	v_fma_f32 v25, v24, v25, v16
	;; [unrolled: 1-line block ×3, first 2 shown]
	v_mul_f32_e64 v25, |v22|, v25
	v_fma_f32 v24, v24, v25, |v22|
; %bb.35:                               ;   in Loop: Header=BB43_3 Depth=1
	s_or_b64 exec, exec, s[4:5]
	v_bfi_b32 v21, s14, v23, v21
	v_mul_f32_e32 v20, 0.5, v20
	v_add_f32_e32 v21, 1.0, v21
	v_mul_f32_e32 v21, v20, v21
	v_and_b32_e32 v20, 0x7f800000, v21
	v_cmp_ne_u32_e32 vcc, s13, v20
                                        ; implicit-def: $vgpr20
	s_and_saveexec_b64 s[4:5], vcc
	s_xor_b64 s[4:5], exec, s[4:5]
; %bb.36:                               ;   in Loop: Header=BB43_3 Depth=1
	v_bfe_u32 v20, v21, 16, 1
	v_add3_u32 v20, v21, v20, s15
                                        ; implicit-def: $vgpr21
; %bb.37:                               ;   in Loop: Header=BB43_3 Depth=1
	s_andn2_saveexec_b64 s[4:5], s[4:5]
; %bb.38:                               ;   in Loop: Header=BB43_3 Depth=1
	v_or_b32_e32 v20, 0x10000, v21
	v_cmp_eq_u32_sdwa vcc, v21, v19 src0_sel:WORD_0 src1_sel:DWORD
	v_cndmask_b32_e32 v20, v20, v21, vcc
; %bb.39:                               ;   in Loop: Header=BB43_3 Depth=1
	s_or_b64 exec, exec, s[4:5]
	v_bfi_b32 v21, s14, v24, v22
	v_mul_f32_e32 v7, 0.5, v7
	v_add_f32_e32 v21, 1.0, v21
	v_mul_f32_e32 v7, v7, v21
	v_and_b32_e32 v21, 0x7f800000, v7
	v_cmp_ne_u32_e32 vcc, s13, v21
                                        ; implicit-def: $vgpr21
	s_and_saveexec_b64 s[4:5], vcc
	s_xor_b64 s[4:5], exec, s[4:5]
; %bb.40:                               ;   in Loop: Header=BB43_3 Depth=1
	v_bfe_u32 v21, v7, 16, 1
	v_add3_u32 v21, v7, v21, s15
                                        ; implicit-def: $vgpr7
; %bb.41:                               ;   in Loop: Header=BB43_3 Depth=1
	s_andn2_saveexec_b64 s[4:5], s[4:5]
; %bb.42:                               ;   in Loop: Header=BB43_3 Depth=1
	v_or_b32_e32 v21, 0x10000, v7
	v_cmp_eq_u32_sdwa vcc, v7, v19 src0_sel:WORD_0 src1_sel:DWORD
	v_cndmask_b32_e32 v21, v21, v7, vcc
; %bb.43:                               ;   in Loop: Header=BB43_3 Depth=1
	s_or_b64 exec, exec, s[4:5]
	v_and_b32_e32 v7, 0xffff0000, v20
	v_lshlrev_b32_e32 v20, 16, v3
	v_mul_f32_e32 v20, v20, v7
	v_and_b32_e32 v7, 0x7f800000, v20
	v_cmp_ne_u32_e32 vcc, s13, v7
                                        ; implicit-def: $vgpr7
	s_and_saveexec_b64 s[4:5], vcc
	s_xor_b64 s[4:5], exec, s[4:5]
; %bb.44:                               ;   in Loop: Header=BB43_3 Depth=1
	v_bfe_u32 v7, v20, 16, 1
	v_add3_u32 v7, v20, v7, s15
                                        ; implicit-def: $vgpr20
; %bb.45:                               ;   in Loop: Header=BB43_3 Depth=1
	s_andn2_saveexec_b64 s[4:5], s[4:5]
; %bb.46:                               ;   in Loop: Header=BB43_3 Depth=1
	v_or_b32_e32 v7, 0x10000, v20
	v_cmp_eq_u32_sdwa vcc, v20, v19 src0_sel:WORD_0 src1_sel:DWORD
	v_cndmask_b32_e32 v7, v7, v20, vcc
; %bb.47:                               ;   in Loop: Header=BB43_3 Depth=1
	s_or_b64 exec, exec, s[4:5]
	v_and_b32_e32 v20, 0xffff0000, v21
	v_and_b32_e32 v3, 0xffff0000, v3
	v_mul_f32_e32 v20, v3, v20
	v_and_b32_e32 v3, 0x7f800000, v20
	v_cmp_ne_u32_e32 vcc, s13, v3
                                        ; implicit-def: $vgpr3
	s_and_saveexec_b64 s[4:5], vcc
	s_xor_b64 s[4:5], exec, s[4:5]
; %bb.48:                               ;   in Loop: Header=BB43_3 Depth=1
	v_bfe_u32 v3, v20, 16, 1
	v_add3_u32 v3, v20, v3, s15
                                        ; implicit-def: $vgpr20
; %bb.49:                               ;   in Loop: Header=BB43_3 Depth=1
	s_andn2_saveexec_b64 s[4:5], s[4:5]
; %bb.50:                               ;   in Loop: Header=BB43_3 Depth=1
	v_or_b32_e32 v3, 0x10000, v20
	v_cmp_eq_u32_sdwa vcc, v20, v19 src0_sel:WORD_0 src1_sel:DWORD
	v_cndmask_b32_e32 v3, v3, v20, vcc
; %bb.51:                               ;   in Loop: Header=BB43_3 Depth=1
	s_or_b64 exec, exec, s[4:5]
	v_lshlrev_b32_e32 v20, 16, v8
	v_mul_f32_e32 v21, v20, v20
	v_mul_f32_e32 v21, v21, v20
	v_mov_b32_e32 v22, v20
	v_fmac_f32_e32 v22, 0x3d372713, v21
	v_mul_f32_e32 v21, 0x3f4c422a, v22
	v_cmp_nlt_f32_e64 s[4:5], |v21|, s9
                                        ; implicit-def: $vgpr23
	s_and_saveexec_b64 s[18:19], s[4:5]
	s_xor_b64 s[4:5], exec, s[18:19]
	s_cbranch_execz .LBB43_53
; %bb.52:                               ;   in Loop: Header=BB43_3 Depth=1
	v_add_f32_e64 v22, |v21|, |v21|
	v_mul_f32_e32 v23, 0x3fb8aa3b, v22
	v_rndne_f32_e32 v24, v23
	v_sub_f32_e32 v25, v23, v24
	v_fma_f32 v23, v22, s10, -v23
	v_fmac_f32_e32 v23, 0x32a5705f, v22
	v_add_f32_e32 v23, v25, v23
	v_cvt_i32_f32_e32 v24, v24
	v_exp_f32_e32 v23, v23
	v_cmp_ngt_f32_e32 vcc, s11, v22
	v_ldexp_f32 v23, v23, v24
	v_cndmask_b32_e32 v23, 0, v23, vcc
	v_cmp_nlt_f32_e32 vcc, s12, v22
	v_cndmask_b32_e32 v22, v18, v23, vcc
	v_add_f32_e32 v22, 1.0, v22
	v_rcp_f32_e32 v22, v22
	v_fma_f32 v23, v22, -2.0, 1.0
.LBB43_53:                              ;   in Loop: Header=BB43_3 Depth=1
	s_andn2_saveexec_b64 s[4:5], s[4:5]
; %bb.54:                               ;   in Loop: Header=BB43_3 Depth=1
	v_mul_f32_e32 v22, v21, v21
	v_mov_b32_e32 v23, 0x3ca908c9
	v_fmac_f32_e32 v23, 0xbbbac73d, v22
	v_fma_f32 v23, v22, v23, v15
	v_fma_f32 v23, v22, v23, v16
	;; [unrolled: 1-line block ×3, first 2 shown]
	v_mul_f32_e64 v23, |v21|, v23
	v_fma_f32 v23, v22, v23, |v21|
; %bb.55:                               ;   in Loop: Header=BB43_3 Depth=1
	s_or_b64 exec, exec, s[4:5]
	v_and_b32_e32 v8, 0xffff0000, v8
	v_mul_f32_e32 v22, v8, v8
	v_mul_f32_e32 v22, v22, v8
	v_mov_b32_e32 v24, v8
	v_fmac_f32_e32 v24, 0x3d372713, v22
	v_mul_f32_e32 v22, 0x3f4c422a, v24
	v_cmp_nlt_f32_e64 s[4:5], |v22|, s9
                                        ; implicit-def: $vgpr24
	s_and_saveexec_b64 s[18:19], s[4:5]
	s_xor_b64 s[4:5], exec, s[18:19]
	s_cbranch_execz .LBB43_57
; %bb.56:                               ;   in Loop: Header=BB43_3 Depth=1
	v_add_f32_e64 v24, |v22|, |v22|
	v_mul_f32_e32 v25, 0x3fb8aa3b, v24
	v_rndne_f32_e32 v26, v25
	v_sub_f32_e32 v27, v25, v26
	v_fma_f32 v25, v24, s10, -v25
	v_fmac_f32_e32 v25, 0x32a5705f, v24
	v_add_f32_e32 v25, v27, v25
	v_cvt_i32_f32_e32 v26, v26
	v_exp_f32_e32 v25, v25
	v_cmp_ngt_f32_e32 vcc, s11, v24
	v_ldexp_f32 v25, v25, v26
	v_cndmask_b32_e32 v25, 0, v25, vcc
	v_cmp_nlt_f32_e32 vcc, s12, v24
	v_cndmask_b32_e32 v24, v18, v25, vcc
	v_add_f32_e32 v24, 1.0, v24
	v_rcp_f32_e32 v24, v24
	v_fma_f32 v24, v24, -2.0, 1.0
.LBB43_57:                              ;   in Loop: Header=BB43_3 Depth=1
	s_andn2_saveexec_b64 s[4:5], s[4:5]
; %bb.58:                               ;   in Loop: Header=BB43_3 Depth=1
	v_mul_f32_e32 v24, v22, v22
	v_mov_b32_e32 v25, 0x3ca908c9
	v_fmac_f32_e32 v25, 0xbbbac73d, v24
	v_fma_f32 v25, v24, v25, v15
	v_fma_f32 v25, v24, v25, v16
	;; [unrolled: 1-line block ×3, first 2 shown]
	v_mul_f32_e64 v25, |v22|, v25
	v_fma_f32 v24, v24, v25, |v22|
; %bb.59:                               ;   in Loop: Header=BB43_3 Depth=1
	s_or_b64 exec, exec, s[4:5]
	v_bfi_b32 v21, s14, v23, v21
	v_mul_f32_e32 v20, 0.5, v20
	v_add_f32_e32 v21, 1.0, v21
	v_mul_f32_e32 v21, v20, v21
	v_and_b32_e32 v20, 0x7f800000, v21
	v_cmp_ne_u32_e32 vcc, s13, v20
                                        ; implicit-def: $vgpr20
	s_and_saveexec_b64 s[4:5], vcc
	s_xor_b64 s[4:5], exec, s[4:5]
; %bb.60:                               ;   in Loop: Header=BB43_3 Depth=1
	v_bfe_u32 v20, v21, 16, 1
	v_add3_u32 v20, v21, v20, s15
                                        ; implicit-def: $vgpr21
; %bb.61:                               ;   in Loop: Header=BB43_3 Depth=1
	s_andn2_saveexec_b64 s[4:5], s[4:5]
; %bb.62:                               ;   in Loop: Header=BB43_3 Depth=1
	v_or_b32_e32 v20, 0x10000, v21
	v_cmp_eq_u32_sdwa vcc, v21, v19 src0_sel:WORD_0 src1_sel:DWORD
	v_cndmask_b32_e32 v20, v20, v21, vcc
; %bb.63:                               ;   in Loop: Header=BB43_3 Depth=1
	s_or_b64 exec, exec, s[4:5]
	v_bfi_b32 v21, s14, v24, v22
	v_mul_f32_e32 v8, 0.5, v8
	v_add_f32_e32 v21, 1.0, v21
	v_mul_f32_e32 v8, v8, v21
	v_and_b32_e32 v21, 0x7f800000, v8
	v_cmp_ne_u32_e32 vcc, s13, v21
                                        ; implicit-def: $vgpr21
	s_and_saveexec_b64 s[4:5], vcc
	s_xor_b64 s[4:5], exec, s[4:5]
; %bb.64:                               ;   in Loop: Header=BB43_3 Depth=1
	v_bfe_u32 v21, v8, 16, 1
	v_add3_u32 v21, v8, v21, s15
                                        ; implicit-def: $vgpr8
; %bb.65:                               ;   in Loop: Header=BB43_3 Depth=1
	s_andn2_saveexec_b64 s[4:5], s[4:5]
; %bb.66:                               ;   in Loop: Header=BB43_3 Depth=1
	v_or_b32_e32 v21, 0x10000, v8
	v_cmp_eq_u32_sdwa vcc, v8, v19 src0_sel:WORD_0 src1_sel:DWORD
	v_cndmask_b32_e32 v21, v21, v8, vcc
; %bb.67:                               ;   in Loop: Header=BB43_3 Depth=1
	s_or_b64 exec, exec, s[4:5]
	v_and_b32_e32 v8, 0xffff0000, v20
	v_lshlrev_b32_e32 v20, 16, v4
	v_mul_f32_e32 v20, v20, v8
	v_and_b32_e32 v8, 0x7f800000, v20
	v_cmp_ne_u32_e32 vcc, s13, v8
                                        ; implicit-def: $vgpr8
	s_and_saveexec_b64 s[4:5], vcc
	s_xor_b64 s[4:5], exec, s[4:5]
; %bb.68:                               ;   in Loop: Header=BB43_3 Depth=1
	v_bfe_u32 v8, v20, 16, 1
	v_add3_u32 v8, v20, v8, s15
                                        ; implicit-def: $vgpr20
; %bb.69:                               ;   in Loop: Header=BB43_3 Depth=1
	s_andn2_saveexec_b64 s[4:5], s[4:5]
; %bb.70:                               ;   in Loop: Header=BB43_3 Depth=1
	v_or_b32_e32 v8, 0x10000, v20
	v_cmp_eq_u32_sdwa vcc, v20, v19 src0_sel:WORD_0 src1_sel:DWORD
	v_cndmask_b32_e32 v8, v8, v20, vcc
; %bb.71:                               ;   in Loop: Header=BB43_3 Depth=1
	s_or_b64 exec, exec, s[4:5]
	v_and_b32_e32 v20, 0xffff0000, v21
	v_and_b32_e32 v4, 0xffff0000, v4
	v_mul_f32_e32 v20, v4, v20
	v_and_b32_e32 v4, 0x7f800000, v20
	v_cmp_ne_u32_e32 vcc, s13, v4
                                        ; implicit-def: $vgpr4
	s_and_saveexec_b64 s[4:5], vcc
	s_xor_b64 s[4:5], exec, s[4:5]
; %bb.72:                               ;   in Loop: Header=BB43_3 Depth=1
	v_bfe_u32 v4, v20, 16, 1
	v_add3_u32 v4, v20, v4, s15
                                        ; implicit-def: $vgpr20
; %bb.73:                               ;   in Loop: Header=BB43_3 Depth=1
	s_andn2_saveexec_b64 s[4:5], s[4:5]
; %bb.74:                               ;   in Loop: Header=BB43_3 Depth=1
	v_or_b32_e32 v4, 0x10000, v20
	v_cmp_eq_u32_sdwa vcc, v20, v19 src0_sel:WORD_0 src1_sel:DWORD
	v_cndmask_b32_e32 v4, v4, v20, vcc
; %bb.75:                               ;   in Loop: Header=BB43_3 Depth=1
	s_or_b64 exec, exec, s[4:5]
	v_lshlrev_b32_e32 v20, 16, v9
	v_mul_f32_e32 v21, v20, v20
	v_mul_f32_e32 v21, v21, v20
	v_mov_b32_e32 v22, v20
	v_fmac_f32_e32 v22, 0x3d372713, v21
	v_mul_f32_e32 v21, 0x3f4c422a, v22
	v_cmp_nlt_f32_e64 s[4:5], |v21|, s9
                                        ; implicit-def: $vgpr23
	s_and_saveexec_b64 s[18:19], s[4:5]
	s_xor_b64 s[4:5], exec, s[18:19]
	s_cbranch_execz .LBB43_77
; %bb.76:                               ;   in Loop: Header=BB43_3 Depth=1
	v_add_f32_e64 v22, |v21|, |v21|
	v_mul_f32_e32 v23, 0x3fb8aa3b, v22
	v_rndne_f32_e32 v24, v23
	v_sub_f32_e32 v25, v23, v24
	v_fma_f32 v23, v22, s10, -v23
	v_fmac_f32_e32 v23, 0x32a5705f, v22
	v_add_f32_e32 v23, v25, v23
	v_cvt_i32_f32_e32 v24, v24
	v_exp_f32_e32 v23, v23
	v_cmp_ngt_f32_e32 vcc, s11, v22
	v_ldexp_f32 v23, v23, v24
	v_cndmask_b32_e32 v23, 0, v23, vcc
	v_cmp_nlt_f32_e32 vcc, s12, v22
	v_cndmask_b32_e32 v22, v18, v23, vcc
	v_add_f32_e32 v22, 1.0, v22
	v_rcp_f32_e32 v22, v22
	v_fma_f32 v23, v22, -2.0, 1.0
.LBB43_77:                              ;   in Loop: Header=BB43_3 Depth=1
	s_andn2_saveexec_b64 s[4:5], s[4:5]
; %bb.78:                               ;   in Loop: Header=BB43_3 Depth=1
	v_mul_f32_e32 v22, v21, v21
	v_mov_b32_e32 v23, 0x3ca908c9
	v_fmac_f32_e32 v23, 0xbbbac73d, v22
	v_fma_f32 v23, v22, v23, v15
	v_fma_f32 v23, v22, v23, v16
	;; [unrolled: 1-line block ×3, first 2 shown]
	v_mul_f32_e64 v23, |v21|, v23
	v_fma_f32 v23, v22, v23, |v21|
; %bb.79:                               ;   in Loop: Header=BB43_3 Depth=1
	s_or_b64 exec, exec, s[4:5]
	v_and_b32_e32 v9, 0xffff0000, v9
	v_mul_f32_e32 v22, v9, v9
	v_mul_f32_e32 v22, v22, v9
	v_mov_b32_e32 v24, v9
	v_fmac_f32_e32 v24, 0x3d372713, v22
	v_mul_f32_e32 v22, 0x3f4c422a, v24
	v_cmp_nlt_f32_e64 s[4:5], |v22|, s9
                                        ; implicit-def: $vgpr24
	s_and_saveexec_b64 s[18:19], s[4:5]
	s_xor_b64 s[4:5], exec, s[18:19]
	s_cbranch_execz .LBB43_81
; %bb.80:                               ;   in Loop: Header=BB43_3 Depth=1
	v_add_f32_e64 v24, |v22|, |v22|
	v_mul_f32_e32 v25, 0x3fb8aa3b, v24
	v_rndne_f32_e32 v26, v25
	v_sub_f32_e32 v27, v25, v26
	v_fma_f32 v25, v24, s10, -v25
	v_fmac_f32_e32 v25, 0x32a5705f, v24
	v_add_f32_e32 v25, v27, v25
	v_cvt_i32_f32_e32 v26, v26
	v_exp_f32_e32 v25, v25
	v_cmp_ngt_f32_e32 vcc, s11, v24
	v_ldexp_f32 v25, v25, v26
	v_cndmask_b32_e32 v25, 0, v25, vcc
	v_cmp_nlt_f32_e32 vcc, s12, v24
	v_cndmask_b32_e32 v24, v18, v25, vcc
	v_add_f32_e32 v24, 1.0, v24
	v_rcp_f32_e32 v24, v24
	v_fma_f32 v24, v24, -2.0, 1.0
.LBB43_81:                              ;   in Loop: Header=BB43_3 Depth=1
	s_andn2_saveexec_b64 s[4:5], s[4:5]
; %bb.82:                               ;   in Loop: Header=BB43_3 Depth=1
	v_mul_f32_e32 v24, v22, v22
	v_mov_b32_e32 v25, 0x3ca908c9
	v_fmac_f32_e32 v25, 0xbbbac73d, v24
	v_fma_f32 v25, v24, v25, v15
	v_fma_f32 v25, v24, v25, v16
	;; [unrolled: 1-line block ×3, first 2 shown]
	v_mul_f32_e64 v25, |v22|, v25
	v_fma_f32 v24, v24, v25, |v22|
; %bb.83:                               ;   in Loop: Header=BB43_3 Depth=1
	s_or_b64 exec, exec, s[4:5]
	v_bfi_b32 v21, s14, v23, v21
	v_mul_f32_e32 v20, 0.5, v20
	v_add_f32_e32 v21, 1.0, v21
	v_mul_f32_e32 v21, v20, v21
	v_and_b32_e32 v20, 0x7f800000, v21
	v_cmp_ne_u32_e32 vcc, s13, v20
                                        ; implicit-def: $vgpr20
	s_and_saveexec_b64 s[4:5], vcc
	s_xor_b64 s[4:5], exec, s[4:5]
; %bb.84:                               ;   in Loop: Header=BB43_3 Depth=1
	v_bfe_u32 v20, v21, 16, 1
	v_add3_u32 v20, v21, v20, s15
                                        ; implicit-def: $vgpr21
; %bb.85:                               ;   in Loop: Header=BB43_3 Depth=1
	s_andn2_saveexec_b64 s[4:5], s[4:5]
; %bb.86:                               ;   in Loop: Header=BB43_3 Depth=1
	v_or_b32_e32 v20, 0x10000, v21
	v_cmp_eq_u32_sdwa vcc, v21, v19 src0_sel:WORD_0 src1_sel:DWORD
	v_cndmask_b32_e32 v20, v20, v21, vcc
; %bb.87:                               ;   in Loop: Header=BB43_3 Depth=1
	s_or_b64 exec, exec, s[4:5]
	v_bfi_b32 v21, s14, v24, v22
	v_mul_f32_e32 v9, 0.5, v9
	v_add_f32_e32 v21, 1.0, v21
	v_mul_f32_e32 v21, v9, v21
	v_and_b32_e32 v9, 0x7f800000, v21
	v_cmp_ne_u32_e32 vcc, s13, v9
                                        ; implicit-def: $vgpr9
	s_and_saveexec_b64 s[4:5], vcc
	s_xor_b64 s[4:5], exec, s[4:5]
; %bb.88:                               ;   in Loop: Header=BB43_3 Depth=1
	v_bfe_u32 v9, v21, 16, 1
	v_add3_u32 v9, v21, v9, s15
                                        ; implicit-def: $vgpr21
; %bb.89:                               ;   in Loop: Header=BB43_3 Depth=1
	s_andn2_saveexec_b64 s[4:5], s[4:5]
; %bb.90:                               ;   in Loop: Header=BB43_3 Depth=1
	v_or_b32_e32 v9, 0x10000, v21
	v_cmp_eq_u32_sdwa vcc, v21, v19 src0_sel:WORD_0 src1_sel:DWORD
	v_cndmask_b32_e32 v9, v9, v21, vcc
; %bb.91:                               ;   in Loop: Header=BB43_3 Depth=1
	s_or_b64 exec, exec, s[4:5]
	v_and_b32_e32 v20, 0xffff0000, v20
	v_lshlrev_b32_e32 v21, 16, v5
	v_mul_f32_e32 v21, v21, v20
	v_and_b32_e32 v20, 0x7f800000, v21
	v_cmp_ne_u32_e32 vcc, s13, v20
                                        ; implicit-def: $vgpr20
	s_and_saveexec_b64 s[4:5], vcc
	s_xor_b64 s[4:5], exec, s[4:5]
; %bb.92:                               ;   in Loop: Header=BB43_3 Depth=1
	v_bfe_u32 v20, v21, 16, 1
	v_add3_u32 v20, v21, v20, s15
                                        ; implicit-def: $vgpr21
; %bb.93:                               ;   in Loop: Header=BB43_3 Depth=1
	s_andn2_saveexec_b64 s[4:5], s[4:5]
; %bb.94:                               ;   in Loop: Header=BB43_3 Depth=1
	v_or_b32_e32 v20, 0x10000, v21
	v_cmp_eq_u32_sdwa vcc, v21, v19 src0_sel:WORD_0 src1_sel:DWORD
	v_cndmask_b32_e32 v20, v20, v21, vcc
; %bb.95:                               ;   in Loop: Header=BB43_3 Depth=1
	s_or_b64 exec, exec, s[4:5]
	v_and_b32_e32 v9, 0xffff0000, v9
	v_and_b32_e32 v5, 0xffff0000, v5
	v_mul_f32_e32 v5, v5, v9
	v_and_b32_e32 v9, 0x7f800000, v5
	v_cmp_ne_u32_e32 vcc, s13, v9
                                        ; implicit-def: $vgpr9
	s_and_saveexec_b64 s[4:5], vcc
	s_xor_b64 s[4:5], exec, s[4:5]
; %bb.96:                               ;   in Loop: Header=BB43_3 Depth=1
	v_bfe_u32 v9, v5, 16, 1
	v_add3_u32 v9, v5, v9, s15
                                        ; implicit-def: $vgpr5
; %bb.97:                               ;   in Loop: Header=BB43_3 Depth=1
	s_andn2_saveexec_b64 s[4:5], s[4:5]
	s_cbranch_execz .LBB43_2
; %bb.98:                               ;   in Loop: Header=BB43_3 Depth=1
	v_or_b32_e32 v9, 0x10000, v5
	v_cmp_eq_u32_sdwa vcc, v5, v19 src0_sel:WORD_0 src1_sel:DWORD
	v_cndmask_b32_e32 v9, v9, v5, vcc
	s_branch .LBB43_2
.LBB43_99:
	s_endpgm
	.section	.rodata,"a",@progbits
	.p2align	6, 0x0
	.amdhsa_kernel _ZN4vllm18act_and_mul_kernelIN3c108BFloat16E15__hip_bfloat162TnPFT_RKS4_EXadL_ZNS_16gelu_tanh_kernelIS2_EES4_S6_EETnPFT0_RKSA_EXadL_ZNS_23packed_gelu_tanh_kernelIS3_EES4_S6_EELb1ELb1ELb0ELb0EEEvPS4_PS5_if
		.amdhsa_group_segment_fixed_size 0
		.amdhsa_private_segment_fixed_size 0
		.amdhsa_kernarg_size 280
		.amdhsa_user_sgpr_count 6
		.amdhsa_user_sgpr_private_segment_buffer 1
		.amdhsa_user_sgpr_dispatch_ptr 0
		.amdhsa_user_sgpr_queue_ptr 0
		.amdhsa_user_sgpr_kernarg_segment_ptr 1
		.amdhsa_user_sgpr_dispatch_id 0
		.amdhsa_user_sgpr_flat_scratch_init 0
		.amdhsa_user_sgpr_kernarg_preload_length 0
		.amdhsa_user_sgpr_kernarg_preload_offset 0
		.amdhsa_user_sgpr_private_segment_size 0
		.amdhsa_uses_dynamic_stack 0
		.amdhsa_system_sgpr_private_segment_wavefront_offset 0
		.amdhsa_system_sgpr_workgroup_id_x 1
		.amdhsa_system_sgpr_workgroup_id_y 0
		.amdhsa_system_sgpr_workgroup_id_z 0
		.amdhsa_system_sgpr_workgroup_info 0
		.amdhsa_system_vgpr_workitem_id 0
		.amdhsa_next_free_vgpr 28
		.amdhsa_next_free_sgpr 20
		.amdhsa_accum_offset 28
		.amdhsa_reserve_vcc 1
		.amdhsa_reserve_flat_scratch 0
		.amdhsa_float_round_mode_32 0
		.amdhsa_float_round_mode_16_64 0
		.amdhsa_float_denorm_mode_32 3
		.amdhsa_float_denorm_mode_16_64 3
		.amdhsa_dx10_clamp 1
		.amdhsa_ieee_mode 1
		.amdhsa_fp16_overflow 0
		.amdhsa_tg_split 0
		.amdhsa_exception_fp_ieee_invalid_op 0
		.amdhsa_exception_fp_denorm_src 0
		.amdhsa_exception_fp_ieee_div_zero 0
		.amdhsa_exception_fp_ieee_overflow 0
		.amdhsa_exception_fp_ieee_underflow 0
		.amdhsa_exception_fp_ieee_inexact 0
		.amdhsa_exception_int_div_zero 0
	.end_amdhsa_kernel
	.section	.text._ZN4vllm18act_and_mul_kernelIN3c108BFloat16E15__hip_bfloat162TnPFT_RKS4_EXadL_ZNS_16gelu_tanh_kernelIS2_EES4_S6_EETnPFT0_RKSA_EXadL_ZNS_23packed_gelu_tanh_kernelIS3_EES4_S6_EELb1ELb1ELb0ELb0EEEvPS4_PS5_if,"axG",@progbits,_ZN4vllm18act_and_mul_kernelIN3c108BFloat16E15__hip_bfloat162TnPFT_RKS4_EXadL_ZNS_16gelu_tanh_kernelIS2_EES4_S6_EETnPFT0_RKSA_EXadL_ZNS_23packed_gelu_tanh_kernelIS3_EES4_S6_EELb1ELb1ELb0ELb0EEEvPS4_PS5_if,comdat
.Lfunc_end43:
	.size	_ZN4vllm18act_and_mul_kernelIN3c108BFloat16E15__hip_bfloat162TnPFT_RKS4_EXadL_ZNS_16gelu_tanh_kernelIS2_EES4_S6_EETnPFT0_RKSA_EXadL_ZNS_23packed_gelu_tanh_kernelIS3_EES4_S6_EELb1ELb1ELb0ELb0EEEvPS4_PS5_if, .Lfunc_end43-_ZN4vllm18act_and_mul_kernelIN3c108BFloat16E15__hip_bfloat162TnPFT_RKS4_EXadL_ZNS_16gelu_tanh_kernelIS2_EES4_S6_EETnPFT0_RKSA_EXadL_ZNS_23packed_gelu_tanh_kernelIS3_EES4_S6_EELb1ELb1ELb0ELb0EEEvPS4_PS5_if
                                        ; -- End function
	.section	.AMDGPU.csdata,"",@progbits
; Kernel info:
; codeLenInByte = 3436
; NumSgprs: 24
; NumVgprs: 28
; NumAgprs: 0
; TotalNumVgprs: 28
; ScratchSize: 0
; MemoryBound: 0
; FloatMode: 240
; IeeeMode: 1
; LDSByteSize: 0 bytes/workgroup (compile time only)
; SGPRBlocks: 2
; VGPRBlocks: 3
; NumSGPRsForWavesPerEU: 24
; NumVGPRsForWavesPerEU: 28
; AccumOffset: 28
; Occupancy: 8
; WaveLimiterHint : 0
; COMPUTE_PGM_RSRC2:SCRATCH_EN: 0
; COMPUTE_PGM_RSRC2:USER_SGPR: 6
; COMPUTE_PGM_RSRC2:TRAP_HANDLER: 0
; COMPUTE_PGM_RSRC2:TGID_X_EN: 1
; COMPUTE_PGM_RSRC2:TGID_Y_EN: 0
; COMPUTE_PGM_RSRC2:TGID_Z_EN: 0
; COMPUTE_PGM_RSRC2:TIDIG_COMP_CNT: 0
; COMPUTE_PGM_RSRC3_GFX90A:ACCUM_OFFSET: 6
; COMPUTE_PGM_RSRC3_GFX90A:TG_SPLIT: 0
	.section	.text._ZN4vllm18act_and_mul_kernelIf15HIP_vector_typeIfLj2EETnPFT_RKS3_EXadL_ZNS_16gelu_tanh_kernelIfEES3_S5_EETnPFT0_RKS9_EXadL_ZNS_23packed_gelu_tanh_kernelIS2_EES3_S5_EELb1ELb0ELb0ELb0EEEvPS3_PS4_if,"axG",@progbits,_ZN4vllm18act_and_mul_kernelIf15HIP_vector_typeIfLj2EETnPFT_RKS3_EXadL_ZNS_16gelu_tanh_kernelIfEES3_S5_EETnPFT0_RKS9_EXadL_ZNS_23packed_gelu_tanh_kernelIS2_EES3_S5_EELb1ELb0ELb0ELb0EEEvPS3_PS4_if,comdat
	.protected	_ZN4vllm18act_and_mul_kernelIf15HIP_vector_typeIfLj2EETnPFT_RKS3_EXadL_ZNS_16gelu_tanh_kernelIfEES3_S5_EETnPFT0_RKS9_EXadL_ZNS_23packed_gelu_tanh_kernelIS2_EES3_S5_EELb1ELb0ELb0ELb0EEEvPS3_PS4_if ; -- Begin function _ZN4vllm18act_and_mul_kernelIf15HIP_vector_typeIfLj2EETnPFT_RKS3_EXadL_ZNS_16gelu_tanh_kernelIfEES3_S5_EETnPFT0_RKS9_EXadL_ZNS_23packed_gelu_tanh_kernelIS2_EES3_S5_EELb1ELb0ELb0ELb0EEEvPS3_PS4_if
	.globl	_ZN4vllm18act_and_mul_kernelIf15HIP_vector_typeIfLj2EETnPFT_RKS3_EXadL_ZNS_16gelu_tanh_kernelIfEES3_S5_EETnPFT0_RKS9_EXadL_ZNS_23packed_gelu_tanh_kernelIS2_EES3_S5_EELb1ELb0ELb0ELb0EEEvPS3_PS4_if
	.p2align	8
	.type	_ZN4vllm18act_and_mul_kernelIf15HIP_vector_typeIfLj2EETnPFT_RKS3_EXadL_ZNS_16gelu_tanh_kernelIfEES3_S5_EETnPFT0_RKS9_EXadL_ZNS_23packed_gelu_tanh_kernelIS2_EES3_S5_EELb1ELb0ELb0ELb0EEEvPS3_PS4_if,@function
_ZN4vllm18act_and_mul_kernelIf15HIP_vector_typeIfLj2EETnPFT_RKS3_EXadL_ZNS_16gelu_tanh_kernelIfEES3_S5_EETnPFT0_RKS9_EXadL_ZNS_23packed_gelu_tanh_kernelIS2_EES3_S5_EELb1ELb0ELb0ELb0EEEvPS3_PS4_if: ; @_ZN4vllm18act_and_mul_kernelIf15HIP_vector_typeIfLj2EETnPFT_RKS3_EXadL_ZNS_16gelu_tanh_kernelIfEES3_S5_EETnPFT0_RKS9_EXadL_ZNS_23packed_gelu_tanh_kernelIS2_EES3_S5_EELb1ELb0ELb0ELb0EEEvPS3_PS4_if
; %bb.0:
	s_load_dword s0, s[4:5], 0x10
	s_waitcnt lgkmcnt(0)
	v_cmp_gt_i32_e32 vcc, s0, v0
	s_and_saveexec_b64 s[2:3], vcc
	s_cbranch_execz .LBB44_7
; %bb.1:
	s_load_dwordx4 s[8:11], s[4:5], 0x0
	s_load_dword s12, s[4:5], 0x24
	s_mul_i32 s2, s6, s0
	s_lshl_b32 s16, s2, 1
	s_mov_b32 s17, 0
	s_lshl_b64 s[6:7], s[16:17], 2
	s_waitcnt lgkmcnt(0)
	s_add_u32 s6, s10, s6
	s_addc_u32 s11, s11, s7
	s_ashr_i32 s1, s0, 31
	s_lshl_b64 s[4:5], s[0:1], 2
	s_add_u32 s7, s6, s4
	s_mov_b32 s3, s17
	s_addc_u32 s4, s11, s5
	s_lshl_b64 s[2:3], s[2:3], 2
	s_add_u32 s8, s8, s2
	s_addc_u32 s5, s9, s3
	v_mov_b32_e32 v1, 0
	s_and_b32 s9, s12, 0xffff
	v_lshlrev_b32_e32 v2, 2, v0
	v_mov_b32_e32 v3, v1
	s_lshl_b32 s10, s9, 2
	s_mov_b64 s[2:3], 0
	v_mov_b32_e32 v4, s11
	v_mov_b32_e32 v5, s4
	s_mov_b32 s11, 0x3f200000
	s_mov_b32 s12, 0x3fb8aa3b
	;; [unrolled: 1-line block ×4, first 2 shown]
	v_mov_b32_e32 v6, 0xbd5c1c4e
	v_mov_b32_e32 v7, 0x3e088382
	;; [unrolled: 1-line block ×3, first 2 shown]
	s_brev_b32 s15, -2
	v_mov_b32_e32 v9, s5
	v_mov_b32_e32 v10, s17
	;; [unrolled: 1-line block ×4, first 2 shown]
	s_branch .LBB44_3
.LBB44_2:                               ;   in Loop: Header=BB44_3 Depth=1
	s_or_b64 exec, exec, s[4:5]
	v_bfi_b32 v15, s15, v16, v15
	v_mul_f32_e32 v13, 0.5, v13
	v_add_f32_e32 v15, 1.0, v15
	v_mul_f32_e32 v13, v13, v15
	s_waitcnt vmcnt(0)
	v_mul_f32_e32 v13, v14, v13
	v_add_co_u32_e32 v14, vcc, s8, v2
	v_addc_co_u32_e32 v15, vcc, v9, v3, vcc
	v_add_co_u32_e32 v0, vcc, s9, v0
	v_addc_co_u32_e32 v1, vcc, v1, v10, vcc
	v_cmp_le_i64_e32 vcc, s[0:1], v[0:1]
	s_or_b64 s[2:3], vcc, s[2:3]
	v_add_co_u32_e32 v2, vcc, s10, v2
	v_addc_co_u32_e32 v3, vcc, v3, v11, vcc
	global_store_dword v[14:15], v13, off
	s_andn2_b64 exec, exec, s[2:3]
	s_cbranch_execz .LBB44_7
.LBB44_3:                               ; =>This Inner Loop Header: Depth=1
	v_add_co_u32_e32 v14, vcc, s6, v2
	v_addc_co_u32_e32 v15, vcc, v4, v3, vcc
	global_load_dword v13, v[14:15], off
	v_add_co_u32_e32 v14, vcc, s7, v2
	v_addc_co_u32_e32 v15, vcc, v5, v3, vcc
	global_load_dword v14, v[14:15], off
	s_waitcnt vmcnt(1)
	v_mul_f32_e32 v15, v13, v13
	v_mul_f32_e32 v15, v13, v15
	v_mov_b32_e32 v16, v13
	v_fmac_f32_e32 v16, 0x3d372713, v15
	v_mul_f32_e32 v15, 0x3f4c422a, v16
	v_cmp_nlt_f32_e64 s[4:5], |v15|, s11
                                        ; implicit-def: $vgpr16
	s_and_saveexec_b64 s[16:17], s[4:5]
	s_xor_b64 s[4:5], exec, s[16:17]
	s_cbranch_execz .LBB44_5
; %bb.4:                                ;   in Loop: Header=BB44_3 Depth=1
	v_add_f32_e64 v16, |v15|, |v15|
	v_mul_f32_e32 v17, 0x3fb8aa3b, v16
	v_rndne_f32_e32 v18, v17
	v_sub_f32_e32 v19, v17, v18
	v_fma_f32 v17, v16, s12, -v17
	v_fmac_f32_e32 v17, 0x32a5705f, v16
	v_add_f32_e32 v17, v19, v17
	v_cvt_i32_f32_e32 v18, v18
	v_exp_f32_e32 v17, v17
	v_cmp_ngt_f32_e32 vcc, s13, v16
	v_ldexp_f32 v17, v17, v18
	v_cndmask_b32_e32 v17, 0, v17, vcc
	v_cmp_nlt_f32_e32 vcc, s14, v16
	v_cndmask_b32_e32 v16, v12, v17, vcc
	v_add_f32_e32 v16, 1.0, v16
	v_rcp_f32_e32 v16, v16
	v_fma_f32 v16, v16, -2.0, 1.0
.LBB44_5:                               ;   in Loop: Header=BB44_3 Depth=1
	s_andn2_saveexec_b64 s[4:5], s[4:5]
	s_cbranch_execz .LBB44_2
; %bb.6:                                ;   in Loop: Header=BB44_3 Depth=1
	v_mul_f32_e32 v16, v15, v15
	v_mov_b32_e32 v17, 0x3ca908c9
	v_fmac_f32_e32 v17, 0xbbbac73d, v16
	v_fma_f32 v17, v16, v17, v6
	v_fma_f32 v17, v16, v17, v7
	;; [unrolled: 1-line block ×3, first 2 shown]
	v_mul_f32_e64 v17, |v15|, v17
	v_fma_f32 v16, v16, v17, |v15|
	s_branch .LBB44_2
.LBB44_7:
	s_endpgm
	.section	.rodata,"a",@progbits
	.p2align	6, 0x0
	.amdhsa_kernel _ZN4vllm18act_and_mul_kernelIf15HIP_vector_typeIfLj2EETnPFT_RKS3_EXadL_ZNS_16gelu_tanh_kernelIfEES3_S5_EETnPFT0_RKS9_EXadL_ZNS_23packed_gelu_tanh_kernelIS2_EES3_S5_EELb1ELb0ELb0ELb0EEEvPS3_PS4_if
		.amdhsa_group_segment_fixed_size 0
		.amdhsa_private_segment_fixed_size 0
		.amdhsa_kernarg_size 280
		.amdhsa_user_sgpr_count 6
		.amdhsa_user_sgpr_private_segment_buffer 1
		.amdhsa_user_sgpr_dispatch_ptr 0
		.amdhsa_user_sgpr_queue_ptr 0
		.amdhsa_user_sgpr_kernarg_segment_ptr 1
		.amdhsa_user_sgpr_dispatch_id 0
		.amdhsa_user_sgpr_flat_scratch_init 0
		.amdhsa_user_sgpr_kernarg_preload_length 0
		.amdhsa_user_sgpr_kernarg_preload_offset 0
		.amdhsa_user_sgpr_private_segment_size 0
		.amdhsa_uses_dynamic_stack 0
		.amdhsa_system_sgpr_private_segment_wavefront_offset 0
		.amdhsa_system_sgpr_workgroup_id_x 1
		.amdhsa_system_sgpr_workgroup_id_y 0
		.amdhsa_system_sgpr_workgroup_id_z 0
		.amdhsa_system_sgpr_workgroup_info 0
		.amdhsa_system_vgpr_workitem_id 0
		.amdhsa_next_free_vgpr 20
		.amdhsa_next_free_sgpr 18
		.amdhsa_accum_offset 20
		.amdhsa_reserve_vcc 1
		.amdhsa_reserve_flat_scratch 0
		.amdhsa_float_round_mode_32 0
		.amdhsa_float_round_mode_16_64 0
		.amdhsa_float_denorm_mode_32 3
		.amdhsa_float_denorm_mode_16_64 3
		.amdhsa_dx10_clamp 1
		.amdhsa_ieee_mode 1
		.amdhsa_fp16_overflow 0
		.amdhsa_tg_split 0
		.amdhsa_exception_fp_ieee_invalid_op 0
		.amdhsa_exception_fp_denorm_src 0
		.amdhsa_exception_fp_ieee_div_zero 0
		.amdhsa_exception_fp_ieee_overflow 0
		.amdhsa_exception_fp_ieee_underflow 0
		.amdhsa_exception_fp_ieee_inexact 0
		.amdhsa_exception_int_div_zero 0
	.end_amdhsa_kernel
	.section	.text._ZN4vllm18act_and_mul_kernelIf15HIP_vector_typeIfLj2EETnPFT_RKS3_EXadL_ZNS_16gelu_tanh_kernelIfEES3_S5_EETnPFT0_RKS9_EXadL_ZNS_23packed_gelu_tanh_kernelIS2_EES3_S5_EELb1ELb0ELb0ELb0EEEvPS3_PS4_if,"axG",@progbits,_ZN4vllm18act_and_mul_kernelIf15HIP_vector_typeIfLj2EETnPFT_RKS3_EXadL_ZNS_16gelu_tanh_kernelIfEES3_S5_EETnPFT0_RKS9_EXadL_ZNS_23packed_gelu_tanh_kernelIS2_EES3_S5_EELb1ELb0ELb0ELb0EEEvPS3_PS4_if,comdat
.Lfunc_end44:
	.size	_ZN4vllm18act_and_mul_kernelIf15HIP_vector_typeIfLj2EETnPFT_RKS3_EXadL_ZNS_16gelu_tanh_kernelIfEES3_S5_EETnPFT0_RKS9_EXadL_ZNS_23packed_gelu_tanh_kernelIS2_EES3_S5_EELb1ELb0ELb0ELb0EEEvPS3_PS4_if, .Lfunc_end44-_ZN4vllm18act_and_mul_kernelIf15HIP_vector_typeIfLj2EETnPFT_RKS3_EXadL_ZNS_16gelu_tanh_kernelIfEES3_S5_EETnPFT0_RKS9_EXadL_ZNS_23packed_gelu_tanh_kernelIS2_EES3_S5_EELb1ELb0ELb0ELb0EEEvPS3_PS4_if
                                        ; -- End function
	.section	.AMDGPU.csdata,"",@progbits
; Kernel info:
; codeLenInByte = 552
; NumSgprs: 22
; NumVgprs: 20
; NumAgprs: 0
; TotalNumVgprs: 20
; ScratchSize: 0
; MemoryBound: 0
; FloatMode: 240
; IeeeMode: 1
; LDSByteSize: 0 bytes/workgroup (compile time only)
; SGPRBlocks: 2
; VGPRBlocks: 2
; NumSGPRsForWavesPerEU: 22
; NumVGPRsForWavesPerEU: 20
; AccumOffset: 20
; Occupancy: 8
; WaveLimiterHint : 0
; COMPUTE_PGM_RSRC2:SCRATCH_EN: 0
; COMPUTE_PGM_RSRC2:USER_SGPR: 6
; COMPUTE_PGM_RSRC2:TRAP_HANDLER: 0
; COMPUTE_PGM_RSRC2:TGID_X_EN: 1
; COMPUTE_PGM_RSRC2:TGID_Y_EN: 0
; COMPUTE_PGM_RSRC2:TGID_Z_EN: 0
; COMPUTE_PGM_RSRC2:TIDIG_COMP_CNT: 0
; COMPUTE_PGM_RSRC3_GFX90A:ACCUM_OFFSET: 4
; COMPUTE_PGM_RSRC3_GFX90A:TG_SPLIT: 0
	.section	.text._ZN4vllm18act_and_mul_kernelIN3c104HalfE7__half2TnPFT_RKS4_EXadL_ZNS_16gelu_tanh_kernelIS2_EES4_S6_EETnPFT0_RKSA_EXadL_ZNS_23packed_gelu_tanh_kernelIS3_EES4_S6_EELb1ELb0ELb0ELb0EEEvPS4_PS5_if,"axG",@progbits,_ZN4vllm18act_and_mul_kernelIN3c104HalfE7__half2TnPFT_RKS4_EXadL_ZNS_16gelu_tanh_kernelIS2_EES4_S6_EETnPFT0_RKSA_EXadL_ZNS_23packed_gelu_tanh_kernelIS3_EES4_S6_EELb1ELb0ELb0ELb0EEEvPS4_PS5_if,comdat
	.protected	_ZN4vllm18act_and_mul_kernelIN3c104HalfE7__half2TnPFT_RKS4_EXadL_ZNS_16gelu_tanh_kernelIS2_EES4_S6_EETnPFT0_RKSA_EXadL_ZNS_23packed_gelu_tanh_kernelIS3_EES4_S6_EELb1ELb0ELb0ELb0EEEvPS4_PS5_if ; -- Begin function _ZN4vllm18act_and_mul_kernelIN3c104HalfE7__half2TnPFT_RKS4_EXadL_ZNS_16gelu_tanh_kernelIS2_EES4_S6_EETnPFT0_RKSA_EXadL_ZNS_23packed_gelu_tanh_kernelIS3_EES4_S6_EELb1ELb0ELb0ELb0EEEvPS4_PS5_if
	.globl	_ZN4vllm18act_and_mul_kernelIN3c104HalfE7__half2TnPFT_RKS4_EXadL_ZNS_16gelu_tanh_kernelIS2_EES4_S6_EETnPFT0_RKSA_EXadL_ZNS_23packed_gelu_tanh_kernelIS3_EES4_S6_EELb1ELb0ELb0ELb0EEEvPS4_PS5_if
	.p2align	8
	.type	_ZN4vllm18act_and_mul_kernelIN3c104HalfE7__half2TnPFT_RKS4_EXadL_ZNS_16gelu_tanh_kernelIS2_EES4_S6_EETnPFT0_RKSA_EXadL_ZNS_23packed_gelu_tanh_kernelIS3_EES4_S6_EELb1ELb0ELb0ELb0EEEvPS4_PS5_if,@function
_ZN4vllm18act_and_mul_kernelIN3c104HalfE7__half2TnPFT_RKS4_EXadL_ZNS_16gelu_tanh_kernelIS2_EES4_S6_EETnPFT0_RKSA_EXadL_ZNS_23packed_gelu_tanh_kernelIS3_EES4_S6_EELb1ELb0ELb0ELb0EEEvPS4_PS5_if: ; @_ZN4vllm18act_and_mul_kernelIN3c104HalfE7__half2TnPFT_RKS4_EXadL_ZNS_16gelu_tanh_kernelIS2_EES4_S6_EETnPFT0_RKSA_EXadL_ZNS_23packed_gelu_tanh_kernelIS3_EES4_S6_EELb1ELb0ELb0ELb0EEEvPS4_PS5_if
; %bb.0:
	s_load_dword s0, s[4:5], 0x10
	s_waitcnt lgkmcnt(0)
	v_cmp_gt_i32_e32 vcc, s0, v0
	s_and_saveexec_b64 s[2:3], vcc
	s_cbranch_execz .LBB45_7
; %bb.1:
	s_load_dwordx4 s[8:11], s[4:5], 0x0
	s_load_dword s12, s[4:5], 0x24
	s_mul_i32 s2, s6, s0
	s_lshl_b32 s16, s2, 1
	s_mov_b32 s17, 0
	s_lshl_b64 s[6:7], s[16:17], 1
	s_waitcnt lgkmcnt(0)
	s_add_u32 s6, s10, s6
	s_addc_u32 s11, s11, s7
	s_ashr_i32 s1, s0, 31
	s_lshl_b64 s[4:5], s[0:1], 1
	s_add_u32 s7, s6, s4
	s_mov_b32 s3, s17
	s_addc_u32 s4, s11, s5
	s_lshl_b64 s[2:3], s[2:3], 1
	s_add_u32 s8, s8, s2
	s_addc_u32 s5, s9, s3
	v_mov_b32_e32 v1, 0
	s_and_b32 s9, s12, 0xffff
	v_lshlrev_b32_e32 v2, 1, v0
	v_mov_b32_e32 v3, v1
	s_lshl_b32 s10, s9, 1
	s_mov_b64 s[2:3], 0
	v_mov_b32_e32 v4, s11
	v_mov_b32_e32 v5, s4
	s_mov_b32 s11, 0x3d372713
	s_mov_b32 s12, 0x3f200000
	;; [unrolled: 1-line block ×5, first 2 shown]
	v_mov_b32_e32 v6, 0xbd5c1c4e
	v_mov_b32_e32 v7, 0x3e088382
	;; [unrolled: 1-line block ×3, first 2 shown]
	s_brev_b32 s16, -2
	v_mov_b32_e32 v9, s5
	v_mov_b32_e32 v10, s17
	;; [unrolled: 1-line block ×4, first 2 shown]
	s_branch .LBB45_3
.LBB45_2:                               ;   in Loop: Header=BB45_3 Depth=1
	s_or_b64 exec, exec, s[4:5]
	v_bfi_b32 v15, s16, v16, v15
	v_mul_f32_e32 v14, 0.5, v14
	v_add_f32_e32 v15, 1.0, v15
	v_fma_mixlo_f16 v14, v14, v15, 0
	s_waitcnt vmcnt(0)
	v_mul_f16_e32 v13, v13, v14
	v_add_co_u32_e32 v14, vcc, s8, v2
	v_addc_co_u32_e32 v15, vcc, v9, v3, vcc
	v_add_co_u32_e32 v0, vcc, s9, v0
	v_addc_co_u32_e32 v1, vcc, v1, v10, vcc
	v_cmp_le_i64_e32 vcc, s[0:1], v[0:1]
	s_or_b64 s[2:3], vcc, s[2:3]
	v_add_co_u32_e32 v2, vcc, s10, v2
	v_addc_co_u32_e32 v3, vcc, v3, v11, vcc
	global_store_short v[14:15], v13, off
	s_andn2_b64 exec, exec, s[2:3]
	s_cbranch_execz .LBB45_7
.LBB45_3:                               ; =>This Inner Loop Header: Depth=1
	v_add_co_u32_e32 v14, vcc, s6, v2
	v_addc_co_u32_e32 v15, vcc, v4, v3, vcc
	global_load_ushort v16, v[14:15], off
	v_add_co_u32_e32 v14, vcc, s7, v2
	v_addc_co_u32_e32 v15, vcc, v5, v3, vcc
	global_load_ushort v13, v[14:15], off
	s_waitcnt vmcnt(1)
	v_cvt_f32_f16_e32 v14, v16
	v_mul_f32_e32 v15, v14, v14
	v_mul_f32_e32 v15, v15, v14
	v_fma_mix_f32 v15, v15, s11, v16 op_sel_hi:[0,0,1]
	v_mul_f32_e32 v15, 0x3f4c422a, v15
	v_cmp_nlt_f32_e64 s[4:5], |v15|, s12
                                        ; implicit-def: $vgpr16
	s_and_saveexec_b64 s[18:19], s[4:5]
	s_xor_b64 s[4:5], exec, s[18:19]
	s_cbranch_execz .LBB45_5
; %bb.4:                                ;   in Loop: Header=BB45_3 Depth=1
	v_add_f32_e64 v16, |v15|, |v15|
	v_mul_f32_e32 v17, 0x3fb8aa3b, v16
	v_rndne_f32_e32 v18, v17
	v_sub_f32_e32 v19, v17, v18
	v_fma_f32 v17, v16, s13, -v17
	v_fmac_f32_e32 v17, 0x32a5705f, v16
	v_add_f32_e32 v17, v19, v17
	v_cvt_i32_f32_e32 v18, v18
	v_exp_f32_e32 v17, v17
	v_cmp_ngt_f32_e32 vcc, s14, v16
	v_ldexp_f32 v17, v17, v18
	v_cndmask_b32_e32 v17, 0, v17, vcc
	v_cmp_nlt_f32_e32 vcc, s15, v16
	v_cndmask_b32_e32 v16, v12, v17, vcc
	v_add_f32_e32 v16, 1.0, v16
	v_rcp_f32_e32 v16, v16
	v_fma_f32 v16, v16, -2.0, 1.0
.LBB45_5:                               ;   in Loop: Header=BB45_3 Depth=1
	s_andn2_saveexec_b64 s[4:5], s[4:5]
	s_cbranch_execz .LBB45_2
; %bb.6:                                ;   in Loop: Header=BB45_3 Depth=1
	v_mul_f32_e32 v16, v15, v15
	v_mov_b32_e32 v17, 0x3ca908c9
	v_fmac_f32_e32 v17, 0xbbbac73d, v16
	v_fma_f32 v17, v16, v17, v6
	v_fma_f32 v17, v16, v17, v7
	;; [unrolled: 1-line block ×3, first 2 shown]
	v_mul_f32_e64 v17, |v15|, v17
	v_fma_f32 v16, v16, v17, |v15|
	s_branch .LBB45_2
.LBB45_7:
	s_endpgm
	.section	.rodata,"a",@progbits
	.p2align	6, 0x0
	.amdhsa_kernel _ZN4vllm18act_and_mul_kernelIN3c104HalfE7__half2TnPFT_RKS4_EXadL_ZNS_16gelu_tanh_kernelIS2_EES4_S6_EETnPFT0_RKSA_EXadL_ZNS_23packed_gelu_tanh_kernelIS3_EES4_S6_EELb1ELb0ELb0ELb0EEEvPS4_PS5_if
		.amdhsa_group_segment_fixed_size 0
		.amdhsa_private_segment_fixed_size 0
		.amdhsa_kernarg_size 280
		.amdhsa_user_sgpr_count 6
		.amdhsa_user_sgpr_private_segment_buffer 1
		.amdhsa_user_sgpr_dispatch_ptr 0
		.amdhsa_user_sgpr_queue_ptr 0
		.amdhsa_user_sgpr_kernarg_segment_ptr 1
		.amdhsa_user_sgpr_dispatch_id 0
		.amdhsa_user_sgpr_flat_scratch_init 0
		.amdhsa_user_sgpr_kernarg_preload_length 0
		.amdhsa_user_sgpr_kernarg_preload_offset 0
		.amdhsa_user_sgpr_private_segment_size 0
		.amdhsa_uses_dynamic_stack 0
		.amdhsa_system_sgpr_private_segment_wavefront_offset 0
		.amdhsa_system_sgpr_workgroup_id_x 1
		.amdhsa_system_sgpr_workgroup_id_y 0
		.amdhsa_system_sgpr_workgroup_id_z 0
		.amdhsa_system_sgpr_workgroup_info 0
		.amdhsa_system_vgpr_workitem_id 0
		.amdhsa_next_free_vgpr 20
		.amdhsa_next_free_sgpr 20
		.amdhsa_accum_offset 20
		.amdhsa_reserve_vcc 1
		.amdhsa_reserve_flat_scratch 0
		.amdhsa_float_round_mode_32 0
		.amdhsa_float_round_mode_16_64 0
		.amdhsa_float_denorm_mode_32 3
		.amdhsa_float_denorm_mode_16_64 3
		.amdhsa_dx10_clamp 1
		.amdhsa_ieee_mode 1
		.amdhsa_fp16_overflow 0
		.amdhsa_tg_split 0
		.amdhsa_exception_fp_ieee_invalid_op 0
		.amdhsa_exception_fp_denorm_src 0
		.amdhsa_exception_fp_ieee_div_zero 0
		.amdhsa_exception_fp_ieee_overflow 0
		.amdhsa_exception_fp_ieee_underflow 0
		.amdhsa_exception_fp_ieee_inexact 0
		.amdhsa_exception_int_div_zero 0
	.end_amdhsa_kernel
	.section	.text._ZN4vllm18act_and_mul_kernelIN3c104HalfE7__half2TnPFT_RKS4_EXadL_ZNS_16gelu_tanh_kernelIS2_EES4_S6_EETnPFT0_RKSA_EXadL_ZNS_23packed_gelu_tanh_kernelIS3_EES4_S6_EELb1ELb0ELb0ELb0EEEvPS4_PS5_if,"axG",@progbits,_ZN4vllm18act_and_mul_kernelIN3c104HalfE7__half2TnPFT_RKS4_EXadL_ZNS_16gelu_tanh_kernelIS2_EES4_S6_EETnPFT0_RKSA_EXadL_ZNS_23packed_gelu_tanh_kernelIS3_EES4_S6_EELb1ELb0ELb0ELb0EEEvPS4_PS5_if,comdat
.Lfunc_end45:
	.size	_ZN4vllm18act_and_mul_kernelIN3c104HalfE7__half2TnPFT_RKS4_EXadL_ZNS_16gelu_tanh_kernelIS2_EES4_S6_EETnPFT0_RKSA_EXadL_ZNS_23packed_gelu_tanh_kernelIS3_EES4_S6_EELb1ELb0ELb0ELb0EEEvPS4_PS5_if, .Lfunc_end45-_ZN4vllm18act_and_mul_kernelIN3c104HalfE7__half2TnPFT_RKS4_EXadL_ZNS_16gelu_tanh_kernelIS2_EES4_S6_EETnPFT0_RKSA_EXadL_ZNS_23packed_gelu_tanh_kernelIS3_EES4_S6_EELb1ELb0ELb0ELb0EEEvPS4_PS5_if
                                        ; -- End function
	.section	.AMDGPU.csdata,"",@progbits
; Kernel info:
; codeLenInByte = 564
; NumSgprs: 24
; NumVgprs: 20
; NumAgprs: 0
; TotalNumVgprs: 20
; ScratchSize: 0
; MemoryBound: 0
; FloatMode: 240
; IeeeMode: 1
; LDSByteSize: 0 bytes/workgroup (compile time only)
; SGPRBlocks: 2
; VGPRBlocks: 2
; NumSGPRsForWavesPerEU: 24
; NumVGPRsForWavesPerEU: 20
; AccumOffset: 20
; Occupancy: 8
; WaveLimiterHint : 0
; COMPUTE_PGM_RSRC2:SCRATCH_EN: 0
; COMPUTE_PGM_RSRC2:USER_SGPR: 6
; COMPUTE_PGM_RSRC2:TRAP_HANDLER: 0
; COMPUTE_PGM_RSRC2:TGID_X_EN: 1
; COMPUTE_PGM_RSRC2:TGID_Y_EN: 0
; COMPUTE_PGM_RSRC2:TGID_Z_EN: 0
; COMPUTE_PGM_RSRC2:TIDIG_COMP_CNT: 0
; COMPUTE_PGM_RSRC3_GFX90A:ACCUM_OFFSET: 4
; COMPUTE_PGM_RSRC3_GFX90A:TG_SPLIT: 0
	.section	.text._ZN4vllm18act_and_mul_kernelIN3c108BFloat16E15__hip_bfloat162TnPFT_RKS4_EXadL_ZNS_16gelu_tanh_kernelIS2_EES4_S6_EETnPFT0_RKSA_EXadL_ZNS_23packed_gelu_tanh_kernelIS3_EES4_S6_EELb1ELb0ELb0ELb0EEEvPS4_PS5_if,"axG",@progbits,_ZN4vllm18act_and_mul_kernelIN3c108BFloat16E15__hip_bfloat162TnPFT_RKS4_EXadL_ZNS_16gelu_tanh_kernelIS2_EES4_S6_EETnPFT0_RKSA_EXadL_ZNS_23packed_gelu_tanh_kernelIS3_EES4_S6_EELb1ELb0ELb0ELb0EEEvPS4_PS5_if,comdat
	.protected	_ZN4vllm18act_and_mul_kernelIN3c108BFloat16E15__hip_bfloat162TnPFT_RKS4_EXadL_ZNS_16gelu_tanh_kernelIS2_EES4_S6_EETnPFT0_RKSA_EXadL_ZNS_23packed_gelu_tanh_kernelIS3_EES4_S6_EELb1ELb0ELb0ELb0EEEvPS4_PS5_if ; -- Begin function _ZN4vllm18act_and_mul_kernelIN3c108BFloat16E15__hip_bfloat162TnPFT_RKS4_EXadL_ZNS_16gelu_tanh_kernelIS2_EES4_S6_EETnPFT0_RKSA_EXadL_ZNS_23packed_gelu_tanh_kernelIS3_EES4_S6_EELb1ELb0ELb0ELb0EEEvPS4_PS5_if
	.globl	_ZN4vllm18act_and_mul_kernelIN3c108BFloat16E15__hip_bfloat162TnPFT_RKS4_EXadL_ZNS_16gelu_tanh_kernelIS2_EES4_S6_EETnPFT0_RKSA_EXadL_ZNS_23packed_gelu_tanh_kernelIS3_EES4_S6_EELb1ELb0ELb0ELb0EEEvPS4_PS5_if
	.p2align	8
	.type	_ZN4vllm18act_and_mul_kernelIN3c108BFloat16E15__hip_bfloat162TnPFT_RKS4_EXadL_ZNS_16gelu_tanh_kernelIS2_EES4_S6_EETnPFT0_RKSA_EXadL_ZNS_23packed_gelu_tanh_kernelIS3_EES4_S6_EELb1ELb0ELb0ELb0EEEvPS4_PS5_if,@function
_ZN4vllm18act_and_mul_kernelIN3c108BFloat16E15__hip_bfloat162TnPFT_RKS4_EXadL_ZNS_16gelu_tanh_kernelIS2_EES4_S6_EETnPFT0_RKSA_EXadL_ZNS_23packed_gelu_tanh_kernelIS3_EES4_S6_EELb1ELb0ELb0ELb0EEEvPS4_PS5_if: ; @_ZN4vllm18act_and_mul_kernelIN3c108BFloat16E15__hip_bfloat162TnPFT_RKS4_EXadL_ZNS_16gelu_tanh_kernelIS2_EES4_S6_EETnPFT0_RKSA_EXadL_ZNS_23packed_gelu_tanh_kernelIS3_EES4_S6_EELb1ELb0ELb0ELb0EEEvPS4_PS5_if
; %bb.0:
	s_load_dword s0, s[4:5], 0x10
	s_waitcnt lgkmcnt(0)
	v_cmp_gt_i32_e32 vcc, s0, v0
	s_and_saveexec_b64 s[2:3], vcc
	s_cbranch_execz .LBB46_7
; %bb.1:
	s_load_dwordx4 s[8:11], s[4:5], 0x0
	s_load_dword s12, s[4:5], 0x24
	s_mul_i32 s2, s6, s0
	s_lshl_b32 s16, s2, 1
	s_mov_b32 s17, 0
	s_lshl_b64 s[6:7], s[16:17], 1
	s_waitcnt lgkmcnt(0)
	s_add_u32 s6, s10, s6
	s_addc_u32 s11, s11, s7
	s_ashr_i32 s1, s0, 31
	s_lshl_b64 s[4:5], s[0:1], 1
	s_add_u32 s7, s6, s4
	s_mov_b32 s3, s17
	s_addc_u32 s4, s11, s5
	s_lshl_b64 s[2:3], s[2:3], 1
	s_add_u32 s8, s8, s2
	s_addc_u32 s5, s9, s3
	v_mov_b32_e32 v1, 0
	s_and_b32 s9, s12, 0xffff
	v_lshlrev_b32_e32 v2, 1, v0
	v_mov_b32_e32 v3, v1
	s_lshl_b32 s10, s9, 1
	s_mov_b64 s[2:3], 0
	v_mov_b32_e32 v4, s11
	v_mov_b32_e32 v5, s4
	s_mov_b32 s11, 0x3f200000
	s_mov_b32 s12, 0x3fb8aa3b
	;; [unrolled: 1-line block ×4, first 2 shown]
	v_mov_b32_e32 v6, 0xbd5c1c4e
	v_mov_b32_e32 v7, 0x3e088382
	;; [unrolled: 1-line block ×3, first 2 shown]
	s_brev_b32 s15, -2
	s_movk_i32 s16, 0x7fff
	v_mov_b32_e32 v9, 0x7fc00000
	v_mov_b32_e32 v10, 0x7fc0
	;; [unrolled: 1-line block ×6, first 2 shown]
	s_branch .LBB46_3
.LBB46_2:                               ;   in Loop: Header=BB46_3 Depth=1
	s_or_b64 exec, exec, s[4:5]
	v_bfi_b32 v17, s15, v18, v17
	v_mul_f32_e32 v16, 0.5, v16
	v_add_f32_e32 v17, 1.0, v17
	v_mul_f32_e32 v16, v16, v17
	v_bfe_u32 v17, v16, 16, 1
	v_add3_u32 v17, v16, v17, s16
	v_and_b32_e32 v17, 0xffff0000, v17
	v_cmp_o_f32_e32 vcc, v16, v16
	v_cndmask_b32_e32 v16, v9, v17, vcc
	s_waitcnt vmcnt(0)
	v_lshlrev_b32_e32 v15, 16, v15
	v_mul_f32_e32 v15, v16, v15
	v_bfe_u32 v16, v15, 16, 1
	v_add3_u32 v16, v15, v16, s16
	v_lshrrev_b32_e32 v16, 16, v16
	v_cmp_o_f32_e32 vcc, v15, v15
	v_cndmask_b32_e32 v15, v10, v16, vcc
	v_add_co_u32_e32 v16, vcc, s8, v2
	v_addc_co_u32_e32 v17, vcc, v11, v3, vcc
	v_add_co_u32_e32 v0, vcc, s9, v0
	v_addc_co_u32_e32 v1, vcc, v1, v12, vcc
	v_cmp_le_i64_e32 vcc, s[0:1], v[0:1]
	s_or_b64 s[2:3], vcc, s[2:3]
	v_add_co_u32_e32 v2, vcc, s10, v2
	v_addc_co_u32_e32 v3, vcc, v3, v13, vcc
	global_store_short v[16:17], v15, off
	s_andn2_b64 exec, exec, s[2:3]
	s_cbranch_execz .LBB46_7
.LBB46_3:                               ; =>This Inner Loop Header: Depth=1
	v_add_co_u32_e32 v16, vcc, s6, v2
	v_addc_co_u32_e32 v17, vcc, v4, v3, vcc
	global_load_ushort v18, v[16:17], off
	v_add_co_u32_e32 v16, vcc, s7, v2
	v_addc_co_u32_e32 v17, vcc, v5, v3, vcc
	global_load_ushort v15, v[16:17], off
	s_waitcnt vmcnt(1)
	v_lshlrev_b32_e32 v16, 16, v18
	v_mul_f32_e32 v17, v16, v16
	v_mul_f32_e32 v17, v17, v16
	v_mov_b32_e32 v18, v16
	v_fmac_f32_e32 v18, 0x3d372713, v17
	v_mul_f32_e32 v17, 0x3f4c422a, v18
	v_cmp_nlt_f32_e64 s[4:5], |v17|, s11
                                        ; implicit-def: $vgpr18
	s_and_saveexec_b64 s[18:19], s[4:5]
	s_xor_b64 s[4:5], exec, s[18:19]
	s_cbranch_execz .LBB46_5
; %bb.4:                                ;   in Loop: Header=BB46_3 Depth=1
	v_add_f32_e64 v18, |v17|, |v17|
	v_mul_f32_e32 v19, 0x3fb8aa3b, v18
	v_rndne_f32_e32 v20, v19
	v_sub_f32_e32 v21, v19, v20
	v_fma_f32 v19, v18, s12, -v19
	v_fmac_f32_e32 v19, 0x32a5705f, v18
	v_add_f32_e32 v19, v21, v19
	v_cvt_i32_f32_e32 v20, v20
	v_exp_f32_e32 v19, v19
	v_cmp_ngt_f32_e32 vcc, s13, v18
	v_ldexp_f32 v19, v19, v20
	v_cndmask_b32_e32 v19, 0, v19, vcc
	v_cmp_nlt_f32_e32 vcc, s14, v18
	v_cndmask_b32_e32 v18, v14, v19, vcc
	v_add_f32_e32 v18, 1.0, v18
	v_rcp_f32_e32 v18, v18
	v_fma_f32 v18, v18, -2.0, 1.0
.LBB46_5:                               ;   in Loop: Header=BB46_3 Depth=1
	s_andn2_saveexec_b64 s[4:5], s[4:5]
	s_cbranch_execz .LBB46_2
; %bb.6:                                ;   in Loop: Header=BB46_3 Depth=1
	v_mul_f32_e32 v18, v17, v17
	v_mov_b32_e32 v19, 0x3ca908c9
	v_fmac_f32_e32 v19, 0xbbbac73d, v18
	v_fma_f32 v19, v18, v19, v6
	v_fma_f32 v19, v18, v19, v7
	;; [unrolled: 1-line block ×3, first 2 shown]
	v_mul_f32_e64 v19, |v17|, v19
	v_fma_f32 v18, v18, v19, |v17|
	s_branch .LBB46_2
.LBB46_7:
	s_endpgm
	.section	.rodata,"a",@progbits
	.p2align	6, 0x0
	.amdhsa_kernel _ZN4vllm18act_and_mul_kernelIN3c108BFloat16E15__hip_bfloat162TnPFT_RKS4_EXadL_ZNS_16gelu_tanh_kernelIS2_EES4_S6_EETnPFT0_RKSA_EXadL_ZNS_23packed_gelu_tanh_kernelIS3_EES4_S6_EELb1ELb0ELb0ELb0EEEvPS4_PS5_if
		.amdhsa_group_segment_fixed_size 0
		.amdhsa_private_segment_fixed_size 0
		.amdhsa_kernarg_size 280
		.amdhsa_user_sgpr_count 6
		.amdhsa_user_sgpr_private_segment_buffer 1
		.amdhsa_user_sgpr_dispatch_ptr 0
		.amdhsa_user_sgpr_queue_ptr 0
		.amdhsa_user_sgpr_kernarg_segment_ptr 1
		.amdhsa_user_sgpr_dispatch_id 0
		.amdhsa_user_sgpr_flat_scratch_init 0
		.amdhsa_user_sgpr_kernarg_preload_length 0
		.amdhsa_user_sgpr_kernarg_preload_offset 0
		.amdhsa_user_sgpr_private_segment_size 0
		.amdhsa_uses_dynamic_stack 0
		.amdhsa_system_sgpr_private_segment_wavefront_offset 0
		.amdhsa_system_sgpr_workgroup_id_x 1
		.amdhsa_system_sgpr_workgroup_id_y 0
		.amdhsa_system_sgpr_workgroup_id_z 0
		.amdhsa_system_sgpr_workgroup_info 0
		.amdhsa_system_vgpr_workitem_id 0
		.amdhsa_next_free_vgpr 22
		.amdhsa_next_free_sgpr 20
		.amdhsa_accum_offset 24
		.amdhsa_reserve_vcc 1
		.amdhsa_reserve_flat_scratch 0
		.amdhsa_float_round_mode_32 0
		.amdhsa_float_round_mode_16_64 0
		.amdhsa_float_denorm_mode_32 3
		.amdhsa_float_denorm_mode_16_64 3
		.amdhsa_dx10_clamp 1
		.amdhsa_ieee_mode 1
		.amdhsa_fp16_overflow 0
		.amdhsa_tg_split 0
		.amdhsa_exception_fp_ieee_invalid_op 0
		.amdhsa_exception_fp_denorm_src 0
		.amdhsa_exception_fp_ieee_div_zero 0
		.amdhsa_exception_fp_ieee_overflow 0
		.amdhsa_exception_fp_ieee_underflow 0
		.amdhsa_exception_fp_ieee_inexact 0
		.amdhsa_exception_int_div_zero 0
	.end_amdhsa_kernel
	.section	.text._ZN4vllm18act_and_mul_kernelIN3c108BFloat16E15__hip_bfloat162TnPFT_RKS4_EXadL_ZNS_16gelu_tanh_kernelIS2_EES4_S6_EETnPFT0_RKSA_EXadL_ZNS_23packed_gelu_tanh_kernelIS3_EES4_S6_EELb1ELb0ELb0ELb0EEEvPS4_PS5_if,"axG",@progbits,_ZN4vllm18act_and_mul_kernelIN3c108BFloat16E15__hip_bfloat162TnPFT_RKS4_EXadL_ZNS_16gelu_tanh_kernelIS2_EES4_S6_EETnPFT0_RKSA_EXadL_ZNS_23packed_gelu_tanh_kernelIS3_EES4_S6_EELb1ELb0ELb0ELb0EEEvPS4_PS5_if,comdat
.Lfunc_end46:
	.size	_ZN4vllm18act_and_mul_kernelIN3c108BFloat16E15__hip_bfloat162TnPFT_RKS4_EXadL_ZNS_16gelu_tanh_kernelIS2_EES4_S6_EETnPFT0_RKSA_EXadL_ZNS_23packed_gelu_tanh_kernelIS3_EES4_S6_EELb1ELb0ELb0ELb0EEEvPS4_PS5_if, .Lfunc_end46-_ZN4vllm18act_and_mul_kernelIN3c108BFloat16E15__hip_bfloat162TnPFT_RKS4_EXadL_ZNS_16gelu_tanh_kernelIS2_EES4_S6_EETnPFT0_RKSA_EXadL_ZNS_23packed_gelu_tanh_kernelIS3_EES4_S6_EELb1ELb0ELb0ELb0EEEvPS4_PS5_if
                                        ; -- End function
	.section	.AMDGPU.csdata,"",@progbits
; Kernel info:
; codeLenInByte = 640
; NumSgprs: 24
; NumVgprs: 22
; NumAgprs: 0
; TotalNumVgprs: 22
; ScratchSize: 0
; MemoryBound: 0
; FloatMode: 240
; IeeeMode: 1
; LDSByteSize: 0 bytes/workgroup (compile time only)
; SGPRBlocks: 2
; VGPRBlocks: 2
; NumSGPRsForWavesPerEU: 24
; NumVGPRsForWavesPerEU: 22
; AccumOffset: 24
; Occupancy: 8
; WaveLimiterHint : 0
; COMPUTE_PGM_RSRC2:SCRATCH_EN: 0
; COMPUTE_PGM_RSRC2:USER_SGPR: 6
; COMPUTE_PGM_RSRC2:TRAP_HANDLER: 0
; COMPUTE_PGM_RSRC2:TGID_X_EN: 1
; COMPUTE_PGM_RSRC2:TGID_Y_EN: 0
; COMPUTE_PGM_RSRC2:TGID_Z_EN: 0
; COMPUTE_PGM_RSRC2:TIDIG_COMP_CNT: 0
; COMPUTE_PGM_RSRC3_GFX90A:ACCUM_OFFSET: 5
; COMPUTE_PGM_RSRC3_GFX90A:TG_SPLIT: 0
	.section	.text._ZN4vllm29act_and_mul_kernel_with_paramIf15HIP_vector_typeIfLj2EETnPFT_RKS3_fEXadL_ZNS_14fatrelu_kernelIfEES3_S5_fEETnPFT0_RKS9_fEXadL_ZNS_21packed_fatrelu_kernelIS2_EES3_S5_fEELb1ELb1EEEvPS3_PS4_if,"axG",@progbits,_ZN4vllm29act_and_mul_kernel_with_paramIf15HIP_vector_typeIfLj2EETnPFT_RKS3_fEXadL_ZNS_14fatrelu_kernelIfEES3_S5_fEETnPFT0_RKS9_fEXadL_ZNS_21packed_fatrelu_kernelIS2_EES3_S5_fEELb1ELb1EEEvPS3_PS4_if,comdat
	.protected	_ZN4vllm29act_and_mul_kernel_with_paramIf15HIP_vector_typeIfLj2EETnPFT_RKS3_fEXadL_ZNS_14fatrelu_kernelIfEES3_S5_fEETnPFT0_RKS9_fEXadL_ZNS_21packed_fatrelu_kernelIS2_EES3_S5_fEELb1ELb1EEEvPS3_PS4_if ; -- Begin function _ZN4vllm29act_and_mul_kernel_with_paramIf15HIP_vector_typeIfLj2EETnPFT_RKS3_fEXadL_ZNS_14fatrelu_kernelIfEES3_S5_fEETnPFT0_RKS9_fEXadL_ZNS_21packed_fatrelu_kernelIS2_EES3_S5_fEELb1ELb1EEEvPS3_PS4_if
	.globl	_ZN4vllm29act_and_mul_kernel_with_paramIf15HIP_vector_typeIfLj2EETnPFT_RKS3_fEXadL_ZNS_14fatrelu_kernelIfEES3_S5_fEETnPFT0_RKS9_fEXadL_ZNS_21packed_fatrelu_kernelIS2_EES3_S5_fEELb1ELb1EEEvPS3_PS4_if
	.p2align	8
	.type	_ZN4vllm29act_and_mul_kernel_with_paramIf15HIP_vector_typeIfLj2EETnPFT_RKS3_fEXadL_ZNS_14fatrelu_kernelIfEES3_S5_fEETnPFT0_RKS9_fEXadL_ZNS_21packed_fatrelu_kernelIS2_EES3_S5_fEELb1ELb1EEEvPS3_PS4_if,@function
_ZN4vllm29act_and_mul_kernel_with_paramIf15HIP_vector_typeIfLj2EETnPFT_RKS3_fEXadL_ZNS_14fatrelu_kernelIfEES3_S5_fEETnPFT0_RKS9_fEXadL_ZNS_21packed_fatrelu_kernelIS2_EES3_S5_fEELb1ELb1EEEvPS3_PS4_if: ; @_ZN4vllm29act_and_mul_kernel_with_paramIf15HIP_vector_typeIfLj2EETnPFT_RKS3_fEXadL_ZNS_14fatrelu_kernelIfEES3_S5_fEETnPFT0_RKS9_fEXadL_ZNS_21packed_fatrelu_kernelIS2_EES3_S5_fEELb1ELb1EEEvPS3_PS4_if
; %bb.0:
	s_add_u32 flat_scratch_lo, s6, s9
	s_load_dword s6, s[4:5], 0x10
	s_addc_u32 flat_scratch_hi, s7, 0
	s_add_u32 s0, s0, s9
	s_addc_u32 s1, s1, 0
	s_mov_b32 s32, 0
	s_waitcnt lgkmcnt(0)
	s_ashr_i32 s7, s6, 31
	s_lshr_b32 s7, s7, 29
	s_add_i32 s6, s6, s7
	s_ashr_i32 s6, s6, 3
	v_cmp_gt_i32_e32 vcc, s6, v0
	s_and_saveexec_b64 s[6:7], vcc
	s_cbranch_execz .LBB47_2
; %bb.1:
	s_add_u32 s8, s4, 24
	s_addc_u32 s9, s5, 0
	s_getpc_b64 s[4:5]
	s_add_u32 s4, s4, .str@rel32@lo+4
	s_addc_u32 s5, s5, .str@rel32@hi+12
	s_getpc_b64 s[6:7]
	s_add_u32 s6, s6, __PRETTY_FUNCTION__._ZN4vllm5ld256ERNS_7u32x8_tEPKS0_@rel32@lo+4
	s_addc_u32 s7, s7, __PRETTY_FUNCTION__._ZN4vllm5ld256ERNS_7u32x8_tEPKS0_@rel32@hi+12
	v_mov_b32_e32 v0, s4
	v_mov_b32_e32 v1, s5
	;; [unrolled: 1-line block ×5, first 2 shown]
	s_getpc_b64 s[10:11]
	s_add_u32 s10, s10, __assert_fail@rel32@lo+4
	s_addc_u32 s11, s11, __assert_fail@rel32@hi+12
	s_swappc_b64 s[30:31], s[10:11]
	; divergent unreachable
.LBB47_2:
	s_endpgm
	.section	.rodata,"a",@progbits
	.p2align	6, 0x0
	.amdhsa_kernel _ZN4vllm29act_and_mul_kernel_with_paramIf15HIP_vector_typeIfLj2EETnPFT_RKS3_fEXadL_ZNS_14fatrelu_kernelIfEES3_S5_fEETnPFT0_RKS9_fEXadL_ZNS_21packed_fatrelu_kernelIS2_EES3_S5_fEELb1ELb1EEEvPS3_PS4_if
		.amdhsa_group_segment_fixed_size 0
		.amdhsa_private_segment_fixed_size 64
		.amdhsa_kernarg_size 280
		.amdhsa_user_sgpr_count 8
		.amdhsa_user_sgpr_private_segment_buffer 1
		.amdhsa_user_sgpr_dispatch_ptr 0
		.amdhsa_user_sgpr_queue_ptr 0
		.amdhsa_user_sgpr_kernarg_segment_ptr 1
		.amdhsa_user_sgpr_dispatch_id 0
		.amdhsa_user_sgpr_flat_scratch_init 1
		.amdhsa_user_sgpr_kernarg_preload_length 0
		.amdhsa_user_sgpr_kernarg_preload_offset 0
		.amdhsa_user_sgpr_private_segment_size 0
		.amdhsa_uses_dynamic_stack 0
		.amdhsa_system_sgpr_private_segment_wavefront_offset 1
		.amdhsa_system_sgpr_workgroup_id_x 1
		.amdhsa_system_sgpr_workgroup_id_y 0
		.amdhsa_system_sgpr_workgroup_id_z 0
		.amdhsa_system_sgpr_workgroup_info 0
		.amdhsa_system_vgpr_workitem_id 0
		.amdhsa_next_free_vgpr 51
		.amdhsa_next_free_sgpr 34
		.amdhsa_accum_offset 52
		.amdhsa_reserve_vcc 1
		.amdhsa_reserve_flat_scratch 1
		.amdhsa_float_round_mode_32 0
		.amdhsa_float_round_mode_16_64 0
		.amdhsa_float_denorm_mode_32 3
		.amdhsa_float_denorm_mode_16_64 3
		.amdhsa_dx10_clamp 1
		.amdhsa_ieee_mode 1
		.amdhsa_fp16_overflow 0
		.amdhsa_tg_split 0
		.amdhsa_exception_fp_ieee_invalid_op 0
		.amdhsa_exception_fp_denorm_src 0
		.amdhsa_exception_fp_ieee_div_zero 0
		.amdhsa_exception_fp_ieee_overflow 0
		.amdhsa_exception_fp_ieee_underflow 0
		.amdhsa_exception_fp_ieee_inexact 0
		.amdhsa_exception_int_div_zero 0
	.end_amdhsa_kernel
	.section	.text._ZN4vllm29act_and_mul_kernel_with_paramIf15HIP_vector_typeIfLj2EETnPFT_RKS3_fEXadL_ZNS_14fatrelu_kernelIfEES3_S5_fEETnPFT0_RKS9_fEXadL_ZNS_21packed_fatrelu_kernelIS2_EES3_S5_fEELb1ELb1EEEvPS3_PS4_if,"axG",@progbits,_ZN4vllm29act_and_mul_kernel_with_paramIf15HIP_vector_typeIfLj2EETnPFT_RKS3_fEXadL_ZNS_14fatrelu_kernelIfEES3_S5_fEETnPFT0_RKS9_fEXadL_ZNS_21packed_fatrelu_kernelIS2_EES3_S5_fEELb1ELb1EEEvPS3_PS4_if,comdat
.Lfunc_end47:
	.size	_ZN4vllm29act_and_mul_kernel_with_paramIf15HIP_vector_typeIfLj2EETnPFT_RKS3_fEXadL_ZNS_14fatrelu_kernelIfEES3_S5_fEETnPFT0_RKS9_fEXadL_ZNS_21packed_fatrelu_kernelIS2_EES3_S5_fEELb1ELb1EEEvPS3_PS4_if, .Lfunc_end47-_ZN4vllm29act_and_mul_kernel_with_paramIf15HIP_vector_typeIfLj2EETnPFT_RKS3_fEXadL_ZNS_14fatrelu_kernelIfEES3_S5_fEETnPFT0_RKS9_fEXadL_ZNS_21packed_fatrelu_kernelIS2_EES3_S5_fEELb1ELb1EEEvPS3_PS4_if
                                        ; -- End function
	.section	.AMDGPU.csdata,"",@progbits
; Kernel info:
; codeLenInByte = 160
; NumSgprs: 40
; NumVgprs: 51
; NumAgprs: 0
; TotalNumVgprs: 51
; ScratchSize: 64
; MemoryBound: 0
; FloatMode: 240
; IeeeMode: 1
; LDSByteSize: 0 bytes/workgroup (compile time only)
; SGPRBlocks: 4
; VGPRBlocks: 6
; NumSGPRsForWavesPerEU: 40
; NumVGPRsForWavesPerEU: 51
; AccumOffset: 52
; Occupancy: 8
; WaveLimiterHint : 1
; COMPUTE_PGM_RSRC2:SCRATCH_EN: 1
; COMPUTE_PGM_RSRC2:USER_SGPR: 8
; COMPUTE_PGM_RSRC2:TRAP_HANDLER: 0
; COMPUTE_PGM_RSRC2:TGID_X_EN: 1
; COMPUTE_PGM_RSRC2:TGID_Y_EN: 0
; COMPUTE_PGM_RSRC2:TGID_Z_EN: 0
; COMPUTE_PGM_RSRC2:TIDIG_COMP_CNT: 0
; COMPUTE_PGM_RSRC3_GFX90A:ACCUM_OFFSET: 12
; COMPUTE_PGM_RSRC3_GFX90A:TG_SPLIT: 0
	.section	.text._ZN4vllm29act_and_mul_kernel_with_paramIN3c104HalfE7__half2TnPFT_RKS4_fEXadL_ZNS_14fatrelu_kernelIS2_EES4_S6_fEETnPFT0_RKSA_fEXadL_ZNS_21packed_fatrelu_kernelIS3_EES4_S6_fEELb1ELb1EEEvPS4_PS5_if,"axG",@progbits,_ZN4vllm29act_and_mul_kernel_with_paramIN3c104HalfE7__half2TnPFT_RKS4_fEXadL_ZNS_14fatrelu_kernelIS2_EES4_S6_fEETnPFT0_RKSA_fEXadL_ZNS_21packed_fatrelu_kernelIS3_EES4_S6_fEELb1ELb1EEEvPS4_PS5_if,comdat
	.protected	_ZN4vllm29act_and_mul_kernel_with_paramIN3c104HalfE7__half2TnPFT_RKS4_fEXadL_ZNS_14fatrelu_kernelIS2_EES4_S6_fEETnPFT0_RKSA_fEXadL_ZNS_21packed_fatrelu_kernelIS3_EES4_S6_fEELb1ELb1EEEvPS4_PS5_if ; -- Begin function _ZN4vllm29act_and_mul_kernel_with_paramIN3c104HalfE7__half2TnPFT_RKS4_fEXadL_ZNS_14fatrelu_kernelIS2_EES4_S6_fEETnPFT0_RKSA_fEXadL_ZNS_21packed_fatrelu_kernelIS3_EES4_S6_fEELb1ELb1EEEvPS4_PS5_if
	.globl	_ZN4vllm29act_and_mul_kernel_with_paramIN3c104HalfE7__half2TnPFT_RKS4_fEXadL_ZNS_14fatrelu_kernelIS2_EES4_S6_fEETnPFT0_RKSA_fEXadL_ZNS_21packed_fatrelu_kernelIS3_EES4_S6_fEELb1ELb1EEEvPS4_PS5_if
	.p2align	8
	.type	_ZN4vllm29act_and_mul_kernel_with_paramIN3c104HalfE7__half2TnPFT_RKS4_fEXadL_ZNS_14fatrelu_kernelIS2_EES4_S6_fEETnPFT0_RKSA_fEXadL_ZNS_21packed_fatrelu_kernelIS3_EES4_S6_fEELb1ELb1EEEvPS4_PS5_if,@function
_ZN4vllm29act_and_mul_kernel_with_paramIN3c104HalfE7__half2TnPFT_RKS4_fEXadL_ZNS_14fatrelu_kernelIS2_EES4_S6_fEETnPFT0_RKSA_fEXadL_ZNS_21packed_fatrelu_kernelIS3_EES4_S6_fEELb1ELb1EEEvPS4_PS5_if: ; @_ZN4vllm29act_and_mul_kernel_with_paramIN3c104HalfE7__half2TnPFT_RKS4_fEXadL_ZNS_14fatrelu_kernelIS2_EES4_S6_fEETnPFT0_RKSA_fEXadL_ZNS_21packed_fatrelu_kernelIS3_EES4_S6_fEELb1ELb1EEEvPS4_PS5_if
; %bb.0:
	s_add_u32 flat_scratch_lo, s6, s9
	s_load_dword s6, s[4:5], 0x10
	s_addc_u32 flat_scratch_hi, s7, 0
	s_add_u32 s0, s0, s9
	s_addc_u32 s1, s1, 0
	s_mov_b32 s32, 0
	s_waitcnt lgkmcnt(0)
	s_ashr_i32 s7, s6, 31
	s_lshr_b32 s7, s7, 28
	s_add_i32 s6, s6, s7
	s_ashr_i32 s6, s6, 4
	v_cmp_gt_i32_e32 vcc, s6, v0
	s_and_saveexec_b64 s[6:7], vcc
	s_cbranch_execz .LBB48_2
; %bb.1:
	s_add_u32 s8, s4, 24
	s_addc_u32 s9, s5, 0
	s_getpc_b64 s[4:5]
	s_add_u32 s4, s4, .str@rel32@lo+4
	s_addc_u32 s5, s5, .str@rel32@hi+12
	s_getpc_b64 s[6:7]
	s_add_u32 s6, s6, __PRETTY_FUNCTION__._ZN4vllm5ld256ERNS_7u32x8_tEPKS0_@rel32@lo+4
	s_addc_u32 s7, s7, __PRETTY_FUNCTION__._ZN4vllm5ld256ERNS_7u32x8_tEPKS0_@rel32@hi+12
	v_mov_b32_e32 v0, s4
	v_mov_b32_e32 v1, s5
	;; [unrolled: 1-line block ×5, first 2 shown]
	s_getpc_b64 s[10:11]
	s_add_u32 s10, s10, __assert_fail@rel32@lo+4
	s_addc_u32 s11, s11, __assert_fail@rel32@hi+12
	s_swappc_b64 s[30:31], s[10:11]
	; divergent unreachable
.LBB48_2:
	s_endpgm
	.section	.rodata,"a",@progbits
	.p2align	6, 0x0
	.amdhsa_kernel _ZN4vllm29act_and_mul_kernel_with_paramIN3c104HalfE7__half2TnPFT_RKS4_fEXadL_ZNS_14fatrelu_kernelIS2_EES4_S6_fEETnPFT0_RKSA_fEXadL_ZNS_21packed_fatrelu_kernelIS3_EES4_S6_fEELb1ELb1EEEvPS4_PS5_if
		.amdhsa_group_segment_fixed_size 0
		.amdhsa_private_segment_fixed_size 64
		.amdhsa_kernarg_size 280
		.amdhsa_user_sgpr_count 8
		.amdhsa_user_sgpr_private_segment_buffer 1
		.amdhsa_user_sgpr_dispatch_ptr 0
		.amdhsa_user_sgpr_queue_ptr 0
		.amdhsa_user_sgpr_kernarg_segment_ptr 1
		.amdhsa_user_sgpr_dispatch_id 0
		.amdhsa_user_sgpr_flat_scratch_init 1
		.amdhsa_user_sgpr_kernarg_preload_length 0
		.amdhsa_user_sgpr_kernarg_preload_offset 0
		.amdhsa_user_sgpr_private_segment_size 0
		.amdhsa_uses_dynamic_stack 0
		.amdhsa_system_sgpr_private_segment_wavefront_offset 1
		.amdhsa_system_sgpr_workgroup_id_x 1
		.amdhsa_system_sgpr_workgroup_id_y 0
		.amdhsa_system_sgpr_workgroup_id_z 0
		.amdhsa_system_sgpr_workgroup_info 0
		.amdhsa_system_vgpr_workitem_id 0
		.amdhsa_next_free_vgpr 51
		.amdhsa_next_free_sgpr 34
		.amdhsa_accum_offset 52
		.amdhsa_reserve_vcc 1
		.amdhsa_reserve_flat_scratch 1
		.amdhsa_float_round_mode_32 0
		.amdhsa_float_round_mode_16_64 0
		.amdhsa_float_denorm_mode_32 3
		.amdhsa_float_denorm_mode_16_64 3
		.amdhsa_dx10_clamp 1
		.amdhsa_ieee_mode 1
		.amdhsa_fp16_overflow 0
		.amdhsa_tg_split 0
		.amdhsa_exception_fp_ieee_invalid_op 0
		.amdhsa_exception_fp_denorm_src 0
		.amdhsa_exception_fp_ieee_div_zero 0
		.amdhsa_exception_fp_ieee_overflow 0
		.amdhsa_exception_fp_ieee_underflow 0
		.amdhsa_exception_fp_ieee_inexact 0
		.amdhsa_exception_int_div_zero 0
	.end_amdhsa_kernel
	.section	.text._ZN4vllm29act_and_mul_kernel_with_paramIN3c104HalfE7__half2TnPFT_RKS4_fEXadL_ZNS_14fatrelu_kernelIS2_EES4_S6_fEETnPFT0_RKSA_fEXadL_ZNS_21packed_fatrelu_kernelIS3_EES4_S6_fEELb1ELb1EEEvPS4_PS5_if,"axG",@progbits,_ZN4vllm29act_and_mul_kernel_with_paramIN3c104HalfE7__half2TnPFT_RKS4_fEXadL_ZNS_14fatrelu_kernelIS2_EES4_S6_fEETnPFT0_RKSA_fEXadL_ZNS_21packed_fatrelu_kernelIS3_EES4_S6_fEELb1ELb1EEEvPS4_PS5_if,comdat
.Lfunc_end48:
	.size	_ZN4vllm29act_and_mul_kernel_with_paramIN3c104HalfE7__half2TnPFT_RKS4_fEXadL_ZNS_14fatrelu_kernelIS2_EES4_S6_fEETnPFT0_RKSA_fEXadL_ZNS_21packed_fatrelu_kernelIS3_EES4_S6_fEELb1ELb1EEEvPS4_PS5_if, .Lfunc_end48-_ZN4vllm29act_and_mul_kernel_with_paramIN3c104HalfE7__half2TnPFT_RKS4_fEXadL_ZNS_14fatrelu_kernelIS2_EES4_S6_fEETnPFT0_RKSA_fEXadL_ZNS_21packed_fatrelu_kernelIS3_EES4_S6_fEELb1ELb1EEEvPS4_PS5_if
                                        ; -- End function
	.section	.AMDGPU.csdata,"",@progbits
; Kernel info:
; codeLenInByte = 160
; NumSgprs: 40
; NumVgprs: 51
; NumAgprs: 0
; TotalNumVgprs: 51
; ScratchSize: 64
; MemoryBound: 0
; FloatMode: 240
; IeeeMode: 1
; LDSByteSize: 0 bytes/workgroup (compile time only)
; SGPRBlocks: 4
; VGPRBlocks: 6
; NumSGPRsForWavesPerEU: 40
; NumVGPRsForWavesPerEU: 51
; AccumOffset: 52
; Occupancy: 8
; WaveLimiterHint : 1
; COMPUTE_PGM_RSRC2:SCRATCH_EN: 1
; COMPUTE_PGM_RSRC2:USER_SGPR: 8
; COMPUTE_PGM_RSRC2:TRAP_HANDLER: 0
; COMPUTE_PGM_RSRC2:TGID_X_EN: 1
; COMPUTE_PGM_RSRC2:TGID_Y_EN: 0
; COMPUTE_PGM_RSRC2:TGID_Z_EN: 0
; COMPUTE_PGM_RSRC2:TIDIG_COMP_CNT: 0
; COMPUTE_PGM_RSRC3_GFX90A:ACCUM_OFFSET: 12
; COMPUTE_PGM_RSRC3_GFX90A:TG_SPLIT: 0
	.section	.text._ZN4vllm29act_and_mul_kernel_with_paramIN3c108BFloat16E15__hip_bfloat162TnPFT_RKS4_fEXadL_ZNS_14fatrelu_kernelIS2_EES4_S6_fEETnPFT0_RKSA_fEXadL_ZNS_21packed_fatrelu_kernelIS3_EES4_S6_fEELb1ELb1EEEvPS4_PS5_if,"axG",@progbits,_ZN4vllm29act_and_mul_kernel_with_paramIN3c108BFloat16E15__hip_bfloat162TnPFT_RKS4_fEXadL_ZNS_14fatrelu_kernelIS2_EES4_S6_fEETnPFT0_RKSA_fEXadL_ZNS_21packed_fatrelu_kernelIS3_EES4_S6_fEELb1ELb1EEEvPS4_PS5_if,comdat
	.protected	_ZN4vllm29act_and_mul_kernel_with_paramIN3c108BFloat16E15__hip_bfloat162TnPFT_RKS4_fEXadL_ZNS_14fatrelu_kernelIS2_EES4_S6_fEETnPFT0_RKSA_fEXadL_ZNS_21packed_fatrelu_kernelIS3_EES4_S6_fEELb1ELb1EEEvPS4_PS5_if ; -- Begin function _ZN4vllm29act_and_mul_kernel_with_paramIN3c108BFloat16E15__hip_bfloat162TnPFT_RKS4_fEXadL_ZNS_14fatrelu_kernelIS2_EES4_S6_fEETnPFT0_RKSA_fEXadL_ZNS_21packed_fatrelu_kernelIS3_EES4_S6_fEELb1ELb1EEEvPS4_PS5_if
	.globl	_ZN4vllm29act_and_mul_kernel_with_paramIN3c108BFloat16E15__hip_bfloat162TnPFT_RKS4_fEXadL_ZNS_14fatrelu_kernelIS2_EES4_S6_fEETnPFT0_RKSA_fEXadL_ZNS_21packed_fatrelu_kernelIS3_EES4_S6_fEELb1ELb1EEEvPS4_PS5_if
	.p2align	8
	.type	_ZN4vllm29act_and_mul_kernel_with_paramIN3c108BFloat16E15__hip_bfloat162TnPFT_RKS4_fEXadL_ZNS_14fatrelu_kernelIS2_EES4_S6_fEETnPFT0_RKSA_fEXadL_ZNS_21packed_fatrelu_kernelIS3_EES4_S6_fEELb1ELb1EEEvPS4_PS5_if,@function
_ZN4vllm29act_and_mul_kernel_with_paramIN3c108BFloat16E15__hip_bfloat162TnPFT_RKS4_fEXadL_ZNS_14fatrelu_kernelIS2_EES4_S6_fEETnPFT0_RKSA_fEXadL_ZNS_21packed_fatrelu_kernelIS3_EES4_S6_fEELb1ELb1EEEvPS4_PS5_if: ; @_ZN4vllm29act_and_mul_kernel_with_paramIN3c108BFloat16E15__hip_bfloat162TnPFT_RKS4_fEXadL_ZNS_14fatrelu_kernelIS2_EES4_S6_fEETnPFT0_RKSA_fEXadL_ZNS_21packed_fatrelu_kernelIS3_EES4_S6_fEELb1ELb1EEEvPS4_PS5_if
; %bb.0:
	s_add_u32 flat_scratch_lo, s6, s9
	s_load_dword s6, s[4:5], 0x10
	s_addc_u32 flat_scratch_hi, s7, 0
	s_add_u32 s0, s0, s9
	s_addc_u32 s1, s1, 0
	s_mov_b32 s32, 0
	s_waitcnt lgkmcnt(0)
	s_ashr_i32 s7, s6, 31
	s_lshr_b32 s7, s7, 28
	s_add_i32 s6, s6, s7
	s_ashr_i32 s6, s6, 4
	v_cmp_gt_i32_e32 vcc, s6, v0
	s_and_saveexec_b64 s[6:7], vcc
	s_cbranch_execz .LBB49_2
; %bb.1:
	s_add_u32 s8, s4, 24
	s_addc_u32 s9, s5, 0
	s_getpc_b64 s[4:5]
	s_add_u32 s4, s4, .str@rel32@lo+4
	s_addc_u32 s5, s5, .str@rel32@hi+12
	s_getpc_b64 s[6:7]
	s_add_u32 s6, s6, __PRETTY_FUNCTION__._ZN4vllm5ld256ERNS_7u32x8_tEPKS0_@rel32@lo+4
	s_addc_u32 s7, s7, __PRETTY_FUNCTION__._ZN4vllm5ld256ERNS_7u32x8_tEPKS0_@rel32@hi+12
	v_mov_b32_e32 v0, s4
	v_mov_b32_e32 v1, s5
	;; [unrolled: 1-line block ×5, first 2 shown]
	s_getpc_b64 s[10:11]
	s_add_u32 s10, s10, __assert_fail@rel32@lo+4
	s_addc_u32 s11, s11, __assert_fail@rel32@hi+12
	s_swappc_b64 s[30:31], s[10:11]
	; divergent unreachable
.LBB49_2:
	s_endpgm
	.section	.rodata,"a",@progbits
	.p2align	6, 0x0
	.amdhsa_kernel _ZN4vllm29act_and_mul_kernel_with_paramIN3c108BFloat16E15__hip_bfloat162TnPFT_RKS4_fEXadL_ZNS_14fatrelu_kernelIS2_EES4_S6_fEETnPFT0_RKSA_fEXadL_ZNS_21packed_fatrelu_kernelIS3_EES4_S6_fEELb1ELb1EEEvPS4_PS5_if
		.amdhsa_group_segment_fixed_size 0
		.amdhsa_private_segment_fixed_size 64
		.amdhsa_kernarg_size 280
		.amdhsa_user_sgpr_count 8
		.amdhsa_user_sgpr_private_segment_buffer 1
		.amdhsa_user_sgpr_dispatch_ptr 0
		.amdhsa_user_sgpr_queue_ptr 0
		.amdhsa_user_sgpr_kernarg_segment_ptr 1
		.amdhsa_user_sgpr_dispatch_id 0
		.amdhsa_user_sgpr_flat_scratch_init 1
		.amdhsa_user_sgpr_kernarg_preload_length 0
		.amdhsa_user_sgpr_kernarg_preload_offset 0
		.amdhsa_user_sgpr_private_segment_size 0
		.amdhsa_uses_dynamic_stack 0
		.amdhsa_system_sgpr_private_segment_wavefront_offset 1
		.amdhsa_system_sgpr_workgroup_id_x 1
		.amdhsa_system_sgpr_workgroup_id_y 0
		.amdhsa_system_sgpr_workgroup_id_z 0
		.amdhsa_system_sgpr_workgroup_info 0
		.amdhsa_system_vgpr_workitem_id 0
		.amdhsa_next_free_vgpr 51
		.amdhsa_next_free_sgpr 34
		.amdhsa_accum_offset 52
		.amdhsa_reserve_vcc 1
		.amdhsa_reserve_flat_scratch 1
		.amdhsa_float_round_mode_32 0
		.amdhsa_float_round_mode_16_64 0
		.amdhsa_float_denorm_mode_32 3
		.amdhsa_float_denorm_mode_16_64 3
		.amdhsa_dx10_clamp 1
		.amdhsa_ieee_mode 1
		.amdhsa_fp16_overflow 0
		.amdhsa_tg_split 0
		.amdhsa_exception_fp_ieee_invalid_op 0
		.amdhsa_exception_fp_denorm_src 0
		.amdhsa_exception_fp_ieee_div_zero 0
		.amdhsa_exception_fp_ieee_overflow 0
		.amdhsa_exception_fp_ieee_underflow 0
		.amdhsa_exception_fp_ieee_inexact 0
		.amdhsa_exception_int_div_zero 0
	.end_amdhsa_kernel
	.section	.text._ZN4vllm29act_and_mul_kernel_with_paramIN3c108BFloat16E15__hip_bfloat162TnPFT_RKS4_fEXadL_ZNS_14fatrelu_kernelIS2_EES4_S6_fEETnPFT0_RKSA_fEXadL_ZNS_21packed_fatrelu_kernelIS3_EES4_S6_fEELb1ELb1EEEvPS4_PS5_if,"axG",@progbits,_ZN4vllm29act_and_mul_kernel_with_paramIN3c108BFloat16E15__hip_bfloat162TnPFT_RKS4_fEXadL_ZNS_14fatrelu_kernelIS2_EES4_S6_fEETnPFT0_RKSA_fEXadL_ZNS_21packed_fatrelu_kernelIS3_EES4_S6_fEELb1ELb1EEEvPS4_PS5_if,comdat
.Lfunc_end49:
	.size	_ZN4vllm29act_and_mul_kernel_with_paramIN3c108BFloat16E15__hip_bfloat162TnPFT_RKS4_fEXadL_ZNS_14fatrelu_kernelIS2_EES4_S6_fEETnPFT0_RKSA_fEXadL_ZNS_21packed_fatrelu_kernelIS3_EES4_S6_fEELb1ELb1EEEvPS4_PS5_if, .Lfunc_end49-_ZN4vllm29act_and_mul_kernel_with_paramIN3c108BFloat16E15__hip_bfloat162TnPFT_RKS4_fEXadL_ZNS_14fatrelu_kernelIS2_EES4_S6_fEETnPFT0_RKSA_fEXadL_ZNS_21packed_fatrelu_kernelIS3_EES4_S6_fEELb1ELb1EEEvPS4_PS5_if
                                        ; -- End function
	.section	.AMDGPU.csdata,"",@progbits
; Kernel info:
; codeLenInByte = 160
; NumSgprs: 40
; NumVgprs: 51
; NumAgprs: 0
; TotalNumVgprs: 51
; ScratchSize: 64
; MemoryBound: 0
; FloatMode: 240
; IeeeMode: 1
; LDSByteSize: 0 bytes/workgroup (compile time only)
; SGPRBlocks: 4
; VGPRBlocks: 6
; NumSGPRsForWavesPerEU: 40
; NumVGPRsForWavesPerEU: 51
; AccumOffset: 52
; Occupancy: 8
; WaveLimiterHint : 1
; COMPUTE_PGM_RSRC2:SCRATCH_EN: 1
; COMPUTE_PGM_RSRC2:USER_SGPR: 8
; COMPUTE_PGM_RSRC2:TRAP_HANDLER: 0
; COMPUTE_PGM_RSRC2:TGID_X_EN: 1
; COMPUTE_PGM_RSRC2:TGID_Y_EN: 0
; COMPUTE_PGM_RSRC2:TGID_Z_EN: 0
; COMPUTE_PGM_RSRC2:TIDIG_COMP_CNT: 0
; COMPUTE_PGM_RSRC3_GFX90A:ACCUM_OFFSET: 12
; COMPUTE_PGM_RSRC3_GFX90A:TG_SPLIT: 0
	.section	.text._ZN4vllm29act_and_mul_kernel_with_paramIf15HIP_vector_typeIfLj2EETnPFT_RKS3_fEXadL_ZNS_14fatrelu_kernelIfEES3_S5_fEETnPFT0_RKS9_fEXadL_ZNS_21packed_fatrelu_kernelIS2_EES3_S5_fEELb1ELb0EEEvPS3_PS4_if,"axG",@progbits,_ZN4vllm29act_and_mul_kernel_with_paramIf15HIP_vector_typeIfLj2EETnPFT_RKS3_fEXadL_ZNS_14fatrelu_kernelIfEES3_S5_fEETnPFT0_RKS9_fEXadL_ZNS_21packed_fatrelu_kernelIS2_EES3_S5_fEELb1ELb0EEEvPS3_PS4_if,comdat
	.protected	_ZN4vllm29act_and_mul_kernel_with_paramIf15HIP_vector_typeIfLj2EETnPFT_RKS3_fEXadL_ZNS_14fatrelu_kernelIfEES3_S5_fEETnPFT0_RKS9_fEXadL_ZNS_21packed_fatrelu_kernelIS2_EES3_S5_fEELb1ELb0EEEvPS3_PS4_if ; -- Begin function _ZN4vllm29act_and_mul_kernel_with_paramIf15HIP_vector_typeIfLj2EETnPFT_RKS3_fEXadL_ZNS_14fatrelu_kernelIfEES3_S5_fEETnPFT0_RKS9_fEXadL_ZNS_21packed_fatrelu_kernelIS2_EES3_S5_fEELb1ELb0EEEvPS3_PS4_if
	.globl	_ZN4vllm29act_and_mul_kernel_with_paramIf15HIP_vector_typeIfLj2EETnPFT_RKS3_fEXadL_ZNS_14fatrelu_kernelIfEES3_S5_fEETnPFT0_RKS9_fEXadL_ZNS_21packed_fatrelu_kernelIS2_EES3_S5_fEELb1ELb0EEEvPS3_PS4_if
	.p2align	8
	.type	_ZN4vllm29act_and_mul_kernel_with_paramIf15HIP_vector_typeIfLj2EETnPFT_RKS3_fEXadL_ZNS_14fatrelu_kernelIfEES3_S5_fEETnPFT0_RKS9_fEXadL_ZNS_21packed_fatrelu_kernelIS2_EES3_S5_fEELb1ELb0EEEvPS3_PS4_if,@function
_ZN4vllm29act_and_mul_kernel_with_paramIf15HIP_vector_typeIfLj2EETnPFT_RKS3_fEXadL_ZNS_14fatrelu_kernelIfEES3_S5_fEETnPFT0_RKS9_fEXadL_ZNS_21packed_fatrelu_kernelIS2_EES3_S5_fEELb1ELb0EEEvPS3_PS4_if: ; @_ZN4vllm29act_and_mul_kernel_with_paramIf15HIP_vector_typeIfLj2EETnPFT_RKS3_fEXadL_ZNS_14fatrelu_kernelIfEES3_S5_fEETnPFT0_RKS9_fEXadL_ZNS_21packed_fatrelu_kernelIS2_EES3_S5_fEELb1ELb0EEEvPS3_PS4_if
; %bb.0:
	s_load_dwordx2 s[2:3], s[4:5], 0x10
	s_waitcnt lgkmcnt(0)
	s_ashr_i32 s1, s2, 31
	s_lshr_b32 s0, s1, 30
	s_add_i32 s0, s2, s0
	s_ashr_i32 s8, s0, 2
	v_cmp_gt_i32_e32 vcc, s8, v0
	s_and_saveexec_b64 s[10:11], vcc
	s_cbranch_execz .LBB50_3
; %bb.1:
	s_load_dwordx4 s[16:19], s[4:5], 0x0
	s_load_dword s9, s[4:5], 0x24
	s_mul_i32 s6, s6, s2
	s_lshl_b32 s4, s6, 1
	s_mov_b32 s5, 0
	s_mov_b32 s0, s2
	;; [unrolled: 1-line block ×3, first 2 shown]
	s_waitcnt lgkmcnt(0)
	s_and_b32 s2, s9, 0xffff
	s_lshl_b64 s[4:5], s[4:5], 2
	s_add_u32 s4, s18, s4
	v_lshlrev_b32_e32 v5, 4, v0
	s_addc_u32 s5, s19, s5
	v_mov_b32_e32 v2, s5
	v_add_co_u32_e32 v1, vcc, s4, v5
	v_addc_co_u32_e32 v2, vcc, 0, v2, vcc
	s_lshl_b64 s[0:1], s[0:1], 2
	s_lshl_b32 s12, s2, 4
	v_mov_b32_e32 v4, s1
	v_add_co_u32_e32 v3, vcc, s0, v1
	s_lshl_b64 s[0:1], s[6:7], 2
	s_add_u32 s0, s16, s0
	v_addc_co_u32_e32 v4, vcc, v2, v4, vcc
	s_addc_u32 s1, s17, s1
	v_mov_b32_e32 v6, s1
	v_add_co_u32_e32 v5, vcc, s0, v5
	s_mov_b32 s9, s3
	s_mov_b32 s10, s3
	;; [unrolled: 1-line block ×3, first 2 shown]
	v_addc_co_u32_e32 v6, vcc, 0, v6, vcc
	s_mov_b64 s[4:5], 0
	s_mov_b64 s[6:7], 0
.LBB50_2:                               ; =>This Inner Loop Header: Depth=1
	v_mov_b32_e32 v7, s7
	v_add_co_u32_e64 v18, s[0:1], s6, v1
	v_add_co_u32_e32 v16, vcc, s6, v3
	v_addc_co_u32_e64 v19, s[0:1], v2, v7, s[0:1]
	v_addc_co_u32_e32 v17, vcc, v4, v7, vcc
	global_load_dwordx4 v[8:11], v[18:19], off
	global_load_dwordx4 v[12:15], v[16:17], off
	v_add_co_u32_e32 v16, vcc, s6, v5
	v_add_u32_e32 v0, s2, v0
	s_add_u32 s6, s6, s12
	v_addc_co_u32_e32 v17, vcc, v6, v7, vcc
	s_addc_u32 s7, s7, 0
	v_cmp_le_i32_e32 vcc, s8, v0
	s_or_b64 s[4:5], vcc, s[4:5]
	s_waitcnt vmcnt(1)
	v_cmp_lt_f32_e32 vcc, s3, v9
	v_cndmask_b32_e32 v9, 0, v9, vcc
	v_cmp_lt_f32_e32 vcc, s9, v8
	v_cndmask_b32_e32 v8, 0, v8, vcc
	;; [unrolled: 2-line block ×4, first 2 shown]
	s_waitcnt vmcnt(0)
	v_pk_mul_f32 v[10:11], v[10:11], v[14:15]
	v_pk_mul_f32 v[8:9], v[8:9], v[12:13]
	global_store_dwordx4 v[16:17], v[8:11], off
	s_andn2_b64 exec, exec, s[4:5]
	s_cbranch_execnz .LBB50_2
.LBB50_3:
	s_endpgm
	.section	.rodata,"a",@progbits
	.p2align	6, 0x0
	.amdhsa_kernel _ZN4vllm29act_and_mul_kernel_with_paramIf15HIP_vector_typeIfLj2EETnPFT_RKS3_fEXadL_ZNS_14fatrelu_kernelIfEES3_S5_fEETnPFT0_RKS9_fEXadL_ZNS_21packed_fatrelu_kernelIS2_EES3_S5_fEELb1ELb0EEEvPS3_PS4_if
		.amdhsa_group_segment_fixed_size 0
		.amdhsa_private_segment_fixed_size 0
		.amdhsa_kernarg_size 280
		.amdhsa_user_sgpr_count 6
		.amdhsa_user_sgpr_private_segment_buffer 1
		.amdhsa_user_sgpr_dispatch_ptr 0
		.amdhsa_user_sgpr_queue_ptr 0
		.amdhsa_user_sgpr_kernarg_segment_ptr 1
		.amdhsa_user_sgpr_dispatch_id 0
		.amdhsa_user_sgpr_flat_scratch_init 0
		.amdhsa_user_sgpr_kernarg_preload_length 0
		.amdhsa_user_sgpr_kernarg_preload_offset 0
		.amdhsa_user_sgpr_private_segment_size 0
		.amdhsa_uses_dynamic_stack 0
		.amdhsa_system_sgpr_private_segment_wavefront_offset 0
		.amdhsa_system_sgpr_workgroup_id_x 1
		.amdhsa_system_sgpr_workgroup_id_y 0
		.amdhsa_system_sgpr_workgroup_id_z 0
		.amdhsa_system_sgpr_workgroup_info 0
		.amdhsa_system_vgpr_workitem_id 0
		.amdhsa_next_free_vgpr 20
		.amdhsa_next_free_sgpr 20
		.amdhsa_accum_offset 20
		.amdhsa_reserve_vcc 1
		.amdhsa_reserve_flat_scratch 0
		.amdhsa_float_round_mode_32 0
		.amdhsa_float_round_mode_16_64 0
		.amdhsa_float_denorm_mode_32 3
		.amdhsa_float_denorm_mode_16_64 3
		.amdhsa_dx10_clamp 1
		.amdhsa_ieee_mode 1
		.amdhsa_fp16_overflow 0
		.amdhsa_tg_split 0
		.amdhsa_exception_fp_ieee_invalid_op 0
		.amdhsa_exception_fp_denorm_src 0
		.amdhsa_exception_fp_ieee_div_zero 0
		.amdhsa_exception_fp_ieee_overflow 0
		.amdhsa_exception_fp_ieee_underflow 0
		.amdhsa_exception_fp_ieee_inexact 0
		.amdhsa_exception_int_div_zero 0
	.end_amdhsa_kernel
	.section	.text._ZN4vllm29act_and_mul_kernel_with_paramIf15HIP_vector_typeIfLj2EETnPFT_RKS3_fEXadL_ZNS_14fatrelu_kernelIfEES3_S5_fEETnPFT0_RKS9_fEXadL_ZNS_21packed_fatrelu_kernelIS2_EES3_S5_fEELb1ELb0EEEvPS3_PS4_if,"axG",@progbits,_ZN4vllm29act_and_mul_kernel_with_paramIf15HIP_vector_typeIfLj2EETnPFT_RKS3_fEXadL_ZNS_14fatrelu_kernelIfEES3_S5_fEETnPFT0_RKS9_fEXadL_ZNS_21packed_fatrelu_kernelIS2_EES3_S5_fEELb1ELb0EEEvPS3_PS4_if,comdat
.Lfunc_end50:
	.size	_ZN4vllm29act_and_mul_kernel_with_paramIf15HIP_vector_typeIfLj2EETnPFT_RKS3_fEXadL_ZNS_14fatrelu_kernelIfEES3_S5_fEETnPFT0_RKS9_fEXadL_ZNS_21packed_fatrelu_kernelIS2_EES3_S5_fEELb1ELb0EEEvPS3_PS4_if, .Lfunc_end50-_ZN4vllm29act_and_mul_kernel_with_paramIf15HIP_vector_typeIfLj2EETnPFT_RKS3_fEXadL_ZNS_14fatrelu_kernelIfEES3_S5_fEETnPFT0_RKS9_fEXadL_ZNS_21packed_fatrelu_kernelIS2_EES3_S5_fEELb1ELb0EEEvPS3_PS4_if
                                        ; -- End function
	.section	.AMDGPU.csdata,"",@progbits
; Kernel info:
; codeLenInByte = 328
; NumSgprs: 24
; NumVgprs: 20
; NumAgprs: 0
; TotalNumVgprs: 20
; ScratchSize: 0
; MemoryBound: 0
; FloatMode: 240
; IeeeMode: 1
; LDSByteSize: 0 bytes/workgroup (compile time only)
; SGPRBlocks: 2
; VGPRBlocks: 2
; NumSGPRsForWavesPerEU: 24
; NumVGPRsForWavesPerEU: 20
; AccumOffset: 20
; Occupancy: 8
; WaveLimiterHint : 0
; COMPUTE_PGM_RSRC2:SCRATCH_EN: 0
; COMPUTE_PGM_RSRC2:USER_SGPR: 6
; COMPUTE_PGM_RSRC2:TRAP_HANDLER: 0
; COMPUTE_PGM_RSRC2:TGID_X_EN: 1
; COMPUTE_PGM_RSRC2:TGID_Y_EN: 0
; COMPUTE_PGM_RSRC2:TGID_Z_EN: 0
; COMPUTE_PGM_RSRC2:TIDIG_COMP_CNT: 0
; COMPUTE_PGM_RSRC3_GFX90A:ACCUM_OFFSET: 4
; COMPUTE_PGM_RSRC3_GFX90A:TG_SPLIT: 0
	.section	.text._ZN4vllm29act_and_mul_kernel_with_paramIN3c104HalfE7__half2TnPFT_RKS4_fEXadL_ZNS_14fatrelu_kernelIS2_EES4_S6_fEETnPFT0_RKSA_fEXadL_ZNS_21packed_fatrelu_kernelIS3_EES4_S6_fEELb1ELb0EEEvPS4_PS5_if,"axG",@progbits,_ZN4vllm29act_and_mul_kernel_with_paramIN3c104HalfE7__half2TnPFT_RKS4_fEXadL_ZNS_14fatrelu_kernelIS2_EES4_S6_fEETnPFT0_RKSA_fEXadL_ZNS_21packed_fatrelu_kernelIS3_EES4_S6_fEELb1ELb0EEEvPS4_PS5_if,comdat
	.protected	_ZN4vllm29act_and_mul_kernel_with_paramIN3c104HalfE7__half2TnPFT_RKS4_fEXadL_ZNS_14fatrelu_kernelIS2_EES4_S6_fEETnPFT0_RKSA_fEXadL_ZNS_21packed_fatrelu_kernelIS3_EES4_S6_fEELb1ELb0EEEvPS4_PS5_if ; -- Begin function _ZN4vllm29act_and_mul_kernel_with_paramIN3c104HalfE7__half2TnPFT_RKS4_fEXadL_ZNS_14fatrelu_kernelIS2_EES4_S6_fEETnPFT0_RKSA_fEXadL_ZNS_21packed_fatrelu_kernelIS3_EES4_S6_fEELb1ELb0EEEvPS4_PS5_if
	.globl	_ZN4vllm29act_and_mul_kernel_with_paramIN3c104HalfE7__half2TnPFT_RKS4_fEXadL_ZNS_14fatrelu_kernelIS2_EES4_S6_fEETnPFT0_RKSA_fEXadL_ZNS_21packed_fatrelu_kernelIS3_EES4_S6_fEELb1ELb0EEEvPS4_PS5_if
	.p2align	8
	.type	_ZN4vllm29act_and_mul_kernel_with_paramIN3c104HalfE7__half2TnPFT_RKS4_fEXadL_ZNS_14fatrelu_kernelIS2_EES4_S6_fEETnPFT0_RKSA_fEXadL_ZNS_21packed_fatrelu_kernelIS3_EES4_S6_fEELb1ELb0EEEvPS4_PS5_if,@function
_ZN4vllm29act_and_mul_kernel_with_paramIN3c104HalfE7__half2TnPFT_RKS4_fEXadL_ZNS_14fatrelu_kernelIS2_EES4_S6_fEETnPFT0_RKSA_fEXadL_ZNS_21packed_fatrelu_kernelIS3_EES4_S6_fEELb1ELb0EEEvPS4_PS5_if: ; @_ZN4vllm29act_and_mul_kernel_with_paramIN3c104HalfE7__half2TnPFT_RKS4_fEXadL_ZNS_14fatrelu_kernelIS2_EES4_S6_fEETnPFT0_RKSA_fEXadL_ZNS_21packed_fatrelu_kernelIS3_EES4_S6_fEELb1ELb0EEEvPS4_PS5_if
; %bb.0:
	s_load_dwordx2 s[0:1], s[4:5], 0x10
	s_waitcnt lgkmcnt(0)
	s_ashr_i32 s3, s0, 31
	s_lshr_b32 s2, s3, 29
	s_add_i32 s2, s0, s2
	s_ashr_i32 s7, s2, 3
	v_cmp_gt_i32_e32 vcc, s7, v0
	s_and_saveexec_b64 s[8:9], vcc
	s_cbranch_execz .LBB51_3
; %bb.1:
	s_mul_i32 s10, s6, s0
	s_load_dwordx4 s[12:15], s[4:5], 0x0
	s_load_dword s6, s[4:5], 0x24
	s_lshl_b32 s4, s10, 1
	s_mov_b32 s5, 0
	s_mov_b32 s2, s0
	;; [unrolled: 1-line block ×3, first 2 shown]
	s_waitcnt lgkmcnt(0)
	s_and_b32 s0, s6, 0xffff
	s_lshl_b64 s[4:5], s[4:5], 1
	s_add_u32 s4, s14, s4
	v_lshlrev_b32_e32 v5, 4, v0
	s_addc_u32 s5, s15, s5
	v_mov_b32_e32 v2, s5
	v_add_co_u32_e32 v1, vcc, s4, v5
	v_addc_co_u32_e32 v2, vcc, 0, v2, vcc
	s_lshl_b64 s[2:3], s[2:3], 1
	s_lshl_b32 s8, s0, 4
	v_mov_b32_e32 v4, s3
	v_add_co_u32_e32 v3, vcc, s2, v1
	s_lshl_b64 s[2:3], s[10:11], 1
	s_add_u32 s2, s12, s2
	v_addc_co_u32_e32 v4, vcc, v2, v4, vcc
	s_addc_u32 s3, s13, s3
	v_mov_b32_e32 v6, s3
	v_add_co_u32_e32 v5, vcc, s2, v5
	s_mov_b32 s6, s1
	v_addc_co_u32_e32 v6, vcc, 0, v6, vcc
	s_mov_b64 s[2:3], 0
	s_mov_b32 s9, 0x5040100
	s_mov_b64 s[4:5], 0
.LBB51_2:                               ; =>This Inner Loop Header: Depth=1
	v_mov_b32_e32 v7, s5
	v_add_co_u32_e32 v8, vcc, s4, v1
	v_addc_co_u32_e32 v9, vcc, v2, v7, vcc
	global_load_dwordx4 v[8:11], v[8:9], off
	v_add_co_u32_e32 v12, vcc, s4, v3
	v_addc_co_u32_e32 v13, vcc, v4, v7, vcc
	global_load_dwordx4 v[12:15], v[12:13], off
	v_add_co_u32_e32 v16, vcc, s4, v5
	v_add_u32_e32 v0, s0, v0
	s_add_u32 s4, s4, s8
	v_addc_co_u32_e32 v17, vcc, v6, v7, vcc
	s_addc_u32 s5, s5, 0
	v_cmp_le_i32_e32 vcc, s7, v0
	s_or_b64 s[2:3], vcc, s[2:3]
	s_waitcnt vmcnt(1)
	v_cvt_f32_f16_e32 v18, v8
	v_cvt_f32_f16_e32 v20, v9
	;; [unrolled: 1-line block ×3, first 2 shown]
	v_lshrrev_b32_e32 v7, 16, v8
	v_cvt_f32_f16_e32 v24, v11
	v_lshrrev_b32_e32 v19, 16, v9
	v_cvt_f32_f16_e32 v25, v7
	v_cmp_lt_f32_e32 vcc, s6, v18
	v_lshrrev_b32_e32 v21, 16, v10
	v_cvt_f32_f16_e32 v26, v19
	v_cndmask_b32_e32 v8, 0, v8, vcc
	v_cmp_lt_f32_e32 vcc, s6, v20
	v_lshrrev_b32_e32 v23, 16, v11
	v_cvt_f32_f16_e32 v27, v21
	v_cndmask_b32_e32 v9, 0, v9, vcc
	v_cmp_lt_f32_e32 vcc, s6, v22
	v_cvt_f32_f16_e32 v28, v23
	v_cndmask_b32_e32 v10, 0, v10, vcc
	v_cmp_lt_f32_e32 vcc, s6, v24
	v_cndmask_b32_e32 v11, 0, v11, vcc
	v_cmp_lt_f32_e32 vcc, s1, v25
	;; [unrolled: 2-line block ×5, first 2 shown]
	v_cndmask_b32_e32 v20, 0, v23, vcc
	v_perm_b32 v7, v7, v8, s9
	v_perm_b32 v9, v18, v9, s9
	;; [unrolled: 1-line block ×4, first 2 shown]
	s_waitcnt vmcnt(0)
	v_pk_mul_f16 v8, v7, v12
	v_pk_mul_f16 v9, v9, v13
	;; [unrolled: 1-line block ×4, first 2 shown]
	global_store_dwordx4 v[16:17], v[8:11], off
	s_andn2_b64 exec, exec, s[2:3]
	s_cbranch_execnz .LBB51_2
.LBB51_3:
	s_endpgm
	.section	.rodata,"a",@progbits
	.p2align	6, 0x0
	.amdhsa_kernel _ZN4vllm29act_and_mul_kernel_with_paramIN3c104HalfE7__half2TnPFT_RKS4_fEXadL_ZNS_14fatrelu_kernelIS2_EES4_S6_fEETnPFT0_RKSA_fEXadL_ZNS_21packed_fatrelu_kernelIS3_EES4_S6_fEELb1ELb0EEEvPS4_PS5_if
		.amdhsa_group_segment_fixed_size 0
		.amdhsa_private_segment_fixed_size 0
		.amdhsa_kernarg_size 280
		.amdhsa_user_sgpr_count 6
		.amdhsa_user_sgpr_private_segment_buffer 1
		.amdhsa_user_sgpr_dispatch_ptr 0
		.amdhsa_user_sgpr_queue_ptr 0
		.amdhsa_user_sgpr_kernarg_segment_ptr 1
		.amdhsa_user_sgpr_dispatch_id 0
		.amdhsa_user_sgpr_flat_scratch_init 0
		.amdhsa_user_sgpr_kernarg_preload_length 0
		.amdhsa_user_sgpr_kernarg_preload_offset 0
		.amdhsa_user_sgpr_private_segment_size 0
		.amdhsa_uses_dynamic_stack 0
		.amdhsa_system_sgpr_private_segment_wavefront_offset 0
		.amdhsa_system_sgpr_workgroup_id_x 1
		.amdhsa_system_sgpr_workgroup_id_y 0
		.amdhsa_system_sgpr_workgroup_id_z 0
		.amdhsa_system_sgpr_workgroup_info 0
		.amdhsa_system_vgpr_workitem_id 0
		.amdhsa_next_free_vgpr 29
		.amdhsa_next_free_sgpr 16
		.amdhsa_accum_offset 32
		.amdhsa_reserve_vcc 1
		.amdhsa_reserve_flat_scratch 0
		.amdhsa_float_round_mode_32 0
		.amdhsa_float_round_mode_16_64 0
		.amdhsa_float_denorm_mode_32 3
		.amdhsa_float_denorm_mode_16_64 3
		.amdhsa_dx10_clamp 1
		.amdhsa_ieee_mode 1
		.amdhsa_fp16_overflow 0
		.amdhsa_tg_split 0
		.amdhsa_exception_fp_ieee_invalid_op 0
		.amdhsa_exception_fp_denorm_src 0
		.amdhsa_exception_fp_ieee_div_zero 0
		.amdhsa_exception_fp_ieee_overflow 0
		.amdhsa_exception_fp_ieee_underflow 0
		.amdhsa_exception_fp_ieee_inexact 0
		.amdhsa_exception_int_div_zero 0
	.end_amdhsa_kernel
	.section	.text._ZN4vllm29act_and_mul_kernel_with_paramIN3c104HalfE7__half2TnPFT_RKS4_fEXadL_ZNS_14fatrelu_kernelIS2_EES4_S6_fEETnPFT0_RKSA_fEXadL_ZNS_21packed_fatrelu_kernelIS3_EES4_S6_fEELb1ELb0EEEvPS4_PS5_if,"axG",@progbits,_ZN4vllm29act_and_mul_kernel_with_paramIN3c104HalfE7__half2TnPFT_RKS4_fEXadL_ZNS_14fatrelu_kernelIS2_EES4_S6_fEETnPFT0_RKSA_fEXadL_ZNS_21packed_fatrelu_kernelIS3_EES4_S6_fEELb1ELb0EEEvPS4_PS5_if,comdat
.Lfunc_end51:
	.size	_ZN4vllm29act_and_mul_kernel_with_paramIN3c104HalfE7__half2TnPFT_RKS4_fEXadL_ZNS_14fatrelu_kernelIS2_EES4_S6_fEETnPFT0_RKSA_fEXadL_ZNS_21packed_fatrelu_kernelIS3_EES4_S6_fEELb1ELb0EEEvPS4_PS5_if, .Lfunc_end51-_ZN4vllm29act_and_mul_kernel_with_paramIN3c104HalfE7__half2TnPFT_RKS4_fEXadL_ZNS_14fatrelu_kernelIS2_EES4_S6_fEETnPFT0_RKSA_fEXadL_ZNS_21packed_fatrelu_kernelIS3_EES4_S6_fEELb1ELb0EEEvPS4_PS5_if
                                        ; -- End function
	.section	.AMDGPU.csdata,"",@progbits
; Kernel info:
; codeLenInByte = 448
; NumSgprs: 20
; NumVgprs: 29
; NumAgprs: 0
; TotalNumVgprs: 29
; ScratchSize: 0
; MemoryBound: 0
; FloatMode: 240
; IeeeMode: 1
; LDSByteSize: 0 bytes/workgroup (compile time only)
; SGPRBlocks: 2
; VGPRBlocks: 3
; NumSGPRsForWavesPerEU: 20
; NumVGPRsForWavesPerEU: 29
; AccumOffset: 32
; Occupancy: 8
; WaveLimiterHint : 0
; COMPUTE_PGM_RSRC2:SCRATCH_EN: 0
; COMPUTE_PGM_RSRC2:USER_SGPR: 6
; COMPUTE_PGM_RSRC2:TRAP_HANDLER: 0
; COMPUTE_PGM_RSRC2:TGID_X_EN: 1
; COMPUTE_PGM_RSRC2:TGID_Y_EN: 0
; COMPUTE_PGM_RSRC2:TGID_Z_EN: 0
; COMPUTE_PGM_RSRC2:TIDIG_COMP_CNT: 0
; COMPUTE_PGM_RSRC3_GFX90A:ACCUM_OFFSET: 7
; COMPUTE_PGM_RSRC3_GFX90A:TG_SPLIT: 0
	.section	.text._ZN4vllm29act_and_mul_kernel_with_paramIN3c108BFloat16E15__hip_bfloat162TnPFT_RKS4_fEXadL_ZNS_14fatrelu_kernelIS2_EES4_S6_fEETnPFT0_RKSA_fEXadL_ZNS_21packed_fatrelu_kernelIS3_EES4_S6_fEELb1ELb0EEEvPS4_PS5_if,"axG",@progbits,_ZN4vllm29act_and_mul_kernel_with_paramIN3c108BFloat16E15__hip_bfloat162TnPFT_RKS4_fEXadL_ZNS_14fatrelu_kernelIS2_EES4_S6_fEETnPFT0_RKSA_fEXadL_ZNS_21packed_fatrelu_kernelIS3_EES4_S6_fEELb1ELb0EEEvPS4_PS5_if,comdat
	.protected	_ZN4vllm29act_and_mul_kernel_with_paramIN3c108BFloat16E15__hip_bfloat162TnPFT_RKS4_fEXadL_ZNS_14fatrelu_kernelIS2_EES4_S6_fEETnPFT0_RKSA_fEXadL_ZNS_21packed_fatrelu_kernelIS3_EES4_S6_fEELb1ELb0EEEvPS4_PS5_if ; -- Begin function _ZN4vllm29act_and_mul_kernel_with_paramIN3c108BFloat16E15__hip_bfloat162TnPFT_RKS4_fEXadL_ZNS_14fatrelu_kernelIS2_EES4_S6_fEETnPFT0_RKSA_fEXadL_ZNS_21packed_fatrelu_kernelIS3_EES4_S6_fEELb1ELb0EEEvPS4_PS5_if
	.globl	_ZN4vllm29act_and_mul_kernel_with_paramIN3c108BFloat16E15__hip_bfloat162TnPFT_RKS4_fEXadL_ZNS_14fatrelu_kernelIS2_EES4_S6_fEETnPFT0_RKSA_fEXadL_ZNS_21packed_fatrelu_kernelIS3_EES4_S6_fEELb1ELb0EEEvPS4_PS5_if
	.p2align	8
	.type	_ZN4vllm29act_and_mul_kernel_with_paramIN3c108BFloat16E15__hip_bfloat162TnPFT_RKS4_fEXadL_ZNS_14fatrelu_kernelIS2_EES4_S6_fEETnPFT0_RKSA_fEXadL_ZNS_21packed_fatrelu_kernelIS3_EES4_S6_fEELb1ELb0EEEvPS4_PS5_if,@function
_ZN4vllm29act_and_mul_kernel_with_paramIN3c108BFloat16E15__hip_bfloat162TnPFT_RKS4_fEXadL_ZNS_14fatrelu_kernelIS2_EES4_S6_fEETnPFT0_RKSA_fEXadL_ZNS_21packed_fatrelu_kernelIS3_EES4_S6_fEELb1ELb0EEEvPS4_PS5_if: ; @_ZN4vllm29act_and_mul_kernel_with_paramIN3c108BFloat16E15__hip_bfloat162TnPFT_RKS4_fEXadL_ZNS_14fatrelu_kernelIS2_EES4_S6_fEETnPFT0_RKSA_fEXadL_ZNS_21packed_fatrelu_kernelIS3_EES4_S6_fEELb1ELb0EEEvPS4_PS5_if
; %bb.0:
	s_load_dwordx2 s[0:1], s[4:5], 0x10
	s_waitcnt lgkmcnt(0)
	s_ashr_i32 s3, s0, 31
	s_lshr_b32 s2, s3, 29
	s_add_i32 s2, s0, s2
	s_ashr_i32 s8, s2, 3
	v_cmp_gt_i32_e32 vcc, s8, v0
	s_and_saveexec_b64 s[10:11], vcc
	s_cbranch_execz .LBB52_67
; %bb.1:
	s_load_dwordx4 s[12:15], s[4:5], 0x0
	s_load_dword s9, s[4:5], 0x24
	s_mul_i32 s6, s6, s0
	s_lshl_b32 s4, s6, 1
	s_mov_b32 s5, 0
	s_mov_b32 s2, s0
	;; [unrolled: 1-line block ×3, first 2 shown]
	s_waitcnt lgkmcnt(0)
	s_and_b32 s0, s9, 0xffff
	s_lshl_b64 s[4:5], s[4:5], 1
	s_add_u32 s4, s14, s4
	v_lshlrev_b32_e32 v2, 4, v0
	s_addc_u32 s5, s15, s5
	v_mov_b32_e32 v3, s5
	v_add_co_u32_e32 v1, vcc, s4, v2
	v_addc_co_u32_e32 v10, vcc, 0, v3, vcc
	s_lshl_b64 s[2:3], s[2:3], 1
	s_lshl_b32 s9, s0, 4
	v_mov_b32_e32 v3, s3
	v_add_co_u32_e32 v11, vcc, s2, v1
	s_lshl_b64 s[2:3], s[6:7], 1
	s_add_u32 s2, s12, s2
	v_addc_co_u32_e32 v12, vcc, v10, v3, vcc
	s_addc_u32 s3, s13, s3
	v_mov_b32_e32 v3, s3
	v_add_co_u32_e32 v13, vcc, s2, v2
	v_addc_co_u32_e32 v14, vcc, 0, v3, vcc
	s_mov_b64 s[2:3], 0
	s_mov_b32 s10, 0x7f800000
	s_movk_i32 s11, 0x7fff
	s_mov_b32 s12, 0x7060302
	v_mov_b32_e32 v15, 0
	s_mov_b64 s[4:5], 0
	s_branch .LBB52_3
.LBB52_2:                               ;   in Loop: Header=BB52_3 Depth=1
	s_or_b64 exec, exec, s[6:7]
	v_perm_b32 v3, v3, v7, s12
	v_perm_b32 v2, v2, v6, s12
	v_mov_b32_e32 v7, s5
	v_add_co_u32_e32 v6, vcc, s4, v13
	v_addc_co_u32_e32 v7, vcc, v14, v7, vcc
	v_add_u32_e32 v0, s0, v0
	s_add_u32 s4, s4, s9
	s_addc_u32 s5, s5, 0
	v_cmp_le_i32_e32 vcc, s8, v0
	v_perm_b32 v5, v9, v16, s12
	v_perm_b32 v4, v4, v8, s12
	s_or_b64 s[2:3], vcc, s[2:3]
	global_store_dwordx4 v[6:7], v[2:5], off
	s_andn2_b64 exec, exec, s[2:3]
	s_cbranch_execz .LBB52_67
.LBB52_3:                               ; =>This Inner Loop Header: Depth=1
	v_mov_b32_e32 v4, s5
	v_add_co_u32_e32 v2, vcc, s4, v1
	v_addc_co_u32_e32 v3, vcc, v10, v4, vcc
	global_load_dwordx4 v[6:9], v[2:3], off
	v_add_co_u32_e32 v2, vcc, s4, v11
	v_addc_co_u32_e32 v3, vcc, v12, v4, vcc
	global_load_dwordx4 v[2:5], v[2:3], off
	s_waitcnt vmcnt(1)
	v_lshlrev_b32_e32 v16, 16, v6
	v_cmp_lt_f32_e32 vcc, s1, v16
	v_cndmask_b32_e32 v17, 0, v16, vcc
	v_and_b32_e32 v16, 0x7f800000, v17
	v_cmp_ne_u32_e32 vcc, s10, v16
                                        ; implicit-def: $vgpr16
	s_and_saveexec_b64 s[6:7], vcc
	s_xor_b64 s[6:7], exec, s[6:7]
; %bb.4:                                ;   in Loop: Header=BB52_3 Depth=1
	v_bfe_u32 v16, v17, 16, 1
	v_add3_u32 v16, v17, v16, s11
                                        ; implicit-def: $vgpr17
; %bb.5:                                ;   in Loop: Header=BB52_3 Depth=1
	s_andn2_saveexec_b64 s[6:7], s[6:7]
; %bb.6:                                ;   in Loop: Header=BB52_3 Depth=1
	v_or_b32_e32 v16, 0x10000, v17
	v_cmp_eq_u32_sdwa vcc, v17, v15 src0_sel:WORD_0 src1_sel:DWORD
	v_cndmask_b32_e32 v16, v16, v17, vcc
; %bb.7:                                ;   in Loop: Header=BB52_3 Depth=1
	s_or_b64 exec, exec, s[6:7]
	v_and_b32_e32 v6, 0xffff0000, v6
	v_cmp_lt_f32_e32 vcc, s1, v6
	v_cndmask_b32_e32 v6, 0, v6, vcc
	v_and_b32_e32 v17, 0x7f800000, v6
	v_cmp_ne_u32_e32 vcc, s10, v17
                                        ; implicit-def: $vgpr17
	s_and_saveexec_b64 s[6:7], vcc
	s_xor_b64 s[6:7], exec, s[6:7]
; %bb.8:                                ;   in Loop: Header=BB52_3 Depth=1
	v_bfe_u32 v17, v6, 16, 1
	v_add3_u32 v17, v6, v17, s11
                                        ; implicit-def: $vgpr6
; %bb.9:                                ;   in Loop: Header=BB52_3 Depth=1
	s_andn2_saveexec_b64 s[6:7], s[6:7]
; %bb.10:                               ;   in Loop: Header=BB52_3 Depth=1
	v_or_b32_e32 v17, 0x10000, v6
	v_cmp_eq_u32_sdwa vcc, v6, v15 src0_sel:WORD_0 src1_sel:DWORD
	v_cndmask_b32_e32 v17, v17, v6, vcc
; %bb.11:                               ;   in Loop: Header=BB52_3 Depth=1
	s_or_b64 exec, exec, s[6:7]
	v_and_b32_e32 v6, 0xffff0000, v16
	s_waitcnt vmcnt(0)
	v_lshlrev_b32_e32 v16, 16, v2
	v_mul_f32_e32 v16, v6, v16
	v_and_b32_e32 v6, 0x7f800000, v16
	v_cmp_ne_u32_e32 vcc, s10, v6
                                        ; implicit-def: $vgpr6
	s_and_saveexec_b64 s[6:7], vcc
	s_xor_b64 s[6:7], exec, s[6:7]
; %bb.12:                               ;   in Loop: Header=BB52_3 Depth=1
	v_bfe_u32 v6, v16, 16, 1
	v_add3_u32 v6, v16, v6, s11
                                        ; implicit-def: $vgpr16
; %bb.13:                               ;   in Loop: Header=BB52_3 Depth=1
	s_andn2_saveexec_b64 s[6:7], s[6:7]
; %bb.14:                               ;   in Loop: Header=BB52_3 Depth=1
	v_or_b32_e32 v6, 0x10000, v16
	v_cmp_eq_u32_sdwa vcc, v16, v15 src0_sel:WORD_0 src1_sel:DWORD
	v_cndmask_b32_e32 v6, v6, v16, vcc
; %bb.15:                               ;   in Loop: Header=BB52_3 Depth=1
	s_or_b64 exec, exec, s[6:7]
	v_and_b32_e32 v16, 0xffff0000, v17
	v_and_b32_e32 v2, 0xffff0000, v2
	v_mul_f32_e32 v16, v16, v2
	v_and_b32_e32 v2, 0x7f800000, v16
	v_cmp_ne_u32_e32 vcc, s10, v2
                                        ; implicit-def: $vgpr2
	s_and_saveexec_b64 s[6:7], vcc
	s_xor_b64 s[6:7], exec, s[6:7]
; %bb.16:                               ;   in Loop: Header=BB52_3 Depth=1
	v_bfe_u32 v2, v16, 16, 1
	v_add3_u32 v2, v16, v2, s11
                                        ; implicit-def: $vgpr16
; %bb.17:                               ;   in Loop: Header=BB52_3 Depth=1
	s_andn2_saveexec_b64 s[6:7], s[6:7]
; %bb.18:                               ;   in Loop: Header=BB52_3 Depth=1
	v_or_b32_e32 v2, 0x10000, v16
	v_cmp_eq_u32_sdwa vcc, v16, v15 src0_sel:WORD_0 src1_sel:DWORD
	v_cndmask_b32_e32 v2, v2, v16, vcc
; %bb.19:                               ;   in Loop: Header=BB52_3 Depth=1
	s_or_b64 exec, exec, s[6:7]
	v_lshlrev_b32_e32 v16, 16, v7
	v_cmp_lt_f32_e32 vcc, s1, v16
	v_cndmask_b32_e32 v17, 0, v16, vcc
	v_and_b32_e32 v16, 0x7f800000, v17
	v_cmp_ne_u32_e32 vcc, s10, v16
                                        ; implicit-def: $vgpr16
	s_and_saveexec_b64 s[6:7], vcc
	s_xor_b64 s[6:7], exec, s[6:7]
; %bb.20:                               ;   in Loop: Header=BB52_3 Depth=1
	v_bfe_u32 v16, v17, 16, 1
	v_add3_u32 v16, v17, v16, s11
                                        ; implicit-def: $vgpr17
; %bb.21:                               ;   in Loop: Header=BB52_3 Depth=1
	s_andn2_saveexec_b64 s[6:7], s[6:7]
; %bb.22:                               ;   in Loop: Header=BB52_3 Depth=1
	v_or_b32_e32 v16, 0x10000, v17
	v_cmp_eq_u32_sdwa vcc, v17, v15 src0_sel:WORD_0 src1_sel:DWORD
	v_cndmask_b32_e32 v16, v16, v17, vcc
; %bb.23:                               ;   in Loop: Header=BB52_3 Depth=1
	s_or_b64 exec, exec, s[6:7]
	v_and_b32_e32 v7, 0xffff0000, v7
	v_cmp_lt_f32_e32 vcc, s1, v7
	v_cndmask_b32_e32 v7, 0, v7, vcc
	v_and_b32_e32 v17, 0x7f800000, v7
	v_cmp_ne_u32_e32 vcc, s10, v17
                                        ; implicit-def: $vgpr17
	s_and_saveexec_b64 s[6:7], vcc
	s_xor_b64 s[6:7], exec, s[6:7]
; %bb.24:                               ;   in Loop: Header=BB52_3 Depth=1
	v_bfe_u32 v17, v7, 16, 1
	v_add3_u32 v17, v7, v17, s11
                                        ; implicit-def: $vgpr7
; %bb.25:                               ;   in Loop: Header=BB52_3 Depth=1
	s_andn2_saveexec_b64 s[6:7], s[6:7]
; %bb.26:                               ;   in Loop: Header=BB52_3 Depth=1
	v_or_b32_e32 v17, 0x10000, v7
	v_cmp_eq_u32_sdwa vcc, v7, v15 src0_sel:WORD_0 src1_sel:DWORD
	v_cndmask_b32_e32 v17, v17, v7, vcc
; %bb.27:                               ;   in Loop: Header=BB52_3 Depth=1
	s_or_b64 exec, exec, s[6:7]
	v_and_b32_e32 v7, 0xffff0000, v16
	v_lshlrev_b32_e32 v16, 16, v3
	v_mul_f32_e32 v16, v7, v16
	v_and_b32_e32 v7, 0x7f800000, v16
	v_cmp_ne_u32_e32 vcc, s10, v7
                                        ; implicit-def: $vgpr7
	s_and_saveexec_b64 s[6:7], vcc
	s_xor_b64 s[6:7], exec, s[6:7]
; %bb.28:                               ;   in Loop: Header=BB52_3 Depth=1
	v_bfe_u32 v7, v16, 16, 1
	v_add3_u32 v7, v16, v7, s11
                                        ; implicit-def: $vgpr16
; %bb.29:                               ;   in Loop: Header=BB52_3 Depth=1
	s_andn2_saveexec_b64 s[6:7], s[6:7]
; %bb.30:                               ;   in Loop: Header=BB52_3 Depth=1
	v_or_b32_e32 v7, 0x10000, v16
	v_cmp_eq_u32_sdwa vcc, v16, v15 src0_sel:WORD_0 src1_sel:DWORD
	v_cndmask_b32_e32 v7, v7, v16, vcc
; %bb.31:                               ;   in Loop: Header=BB52_3 Depth=1
	s_or_b64 exec, exec, s[6:7]
	v_and_b32_e32 v16, 0xffff0000, v17
	v_and_b32_e32 v3, 0xffff0000, v3
	v_mul_f32_e32 v16, v16, v3
	v_and_b32_e32 v3, 0x7f800000, v16
	v_cmp_ne_u32_e32 vcc, s10, v3
                                        ; implicit-def: $vgpr3
	s_and_saveexec_b64 s[6:7], vcc
	s_xor_b64 s[6:7], exec, s[6:7]
; %bb.32:                               ;   in Loop: Header=BB52_3 Depth=1
	v_bfe_u32 v3, v16, 16, 1
	v_add3_u32 v3, v16, v3, s11
                                        ; implicit-def: $vgpr16
; %bb.33:                               ;   in Loop: Header=BB52_3 Depth=1
	s_andn2_saveexec_b64 s[6:7], s[6:7]
; %bb.34:                               ;   in Loop: Header=BB52_3 Depth=1
	v_or_b32_e32 v3, 0x10000, v16
	v_cmp_eq_u32_sdwa vcc, v16, v15 src0_sel:WORD_0 src1_sel:DWORD
	v_cndmask_b32_e32 v3, v3, v16, vcc
; %bb.35:                               ;   in Loop: Header=BB52_3 Depth=1
	s_or_b64 exec, exec, s[6:7]
	v_lshlrev_b32_e32 v16, 16, v8
	v_cmp_lt_f32_e32 vcc, s1, v16
	v_cndmask_b32_e32 v17, 0, v16, vcc
	v_and_b32_e32 v16, 0x7f800000, v17
	v_cmp_ne_u32_e32 vcc, s10, v16
                                        ; implicit-def: $vgpr16
	s_and_saveexec_b64 s[6:7], vcc
	s_xor_b64 s[6:7], exec, s[6:7]
; %bb.36:                               ;   in Loop: Header=BB52_3 Depth=1
	v_bfe_u32 v16, v17, 16, 1
	v_add3_u32 v16, v17, v16, s11
                                        ; implicit-def: $vgpr17
; %bb.37:                               ;   in Loop: Header=BB52_3 Depth=1
	s_andn2_saveexec_b64 s[6:7], s[6:7]
; %bb.38:                               ;   in Loop: Header=BB52_3 Depth=1
	v_or_b32_e32 v16, 0x10000, v17
	v_cmp_eq_u32_sdwa vcc, v17, v15 src0_sel:WORD_0 src1_sel:DWORD
	v_cndmask_b32_e32 v16, v16, v17, vcc
; %bb.39:                               ;   in Loop: Header=BB52_3 Depth=1
	s_or_b64 exec, exec, s[6:7]
	v_and_b32_e32 v8, 0xffff0000, v8
	v_cmp_lt_f32_e32 vcc, s1, v8
	v_cndmask_b32_e32 v8, 0, v8, vcc
	v_and_b32_e32 v17, 0x7f800000, v8
	v_cmp_ne_u32_e32 vcc, s10, v17
                                        ; implicit-def: $vgpr17
	s_and_saveexec_b64 s[6:7], vcc
	s_xor_b64 s[6:7], exec, s[6:7]
; %bb.40:                               ;   in Loop: Header=BB52_3 Depth=1
	v_bfe_u32 v17, v8, 16, 1
	v_add3_u32 v17, v8, v17, s11
                                        ; implicit-def: $vgpr8
; %bb.41:                               ;   in Loop: Header=BB52_3 Depth=1
	s_andn2_saveexec_b64 s[6:7], s[6:7]
; %bb.42:                               ;   in Loop: Header=BB52_3 Depth=1
	v_or_b32_e32 v17, 0x10000, v8
	v_cmp_eq_u32_sdwa vcc, v8, v15 src0_sel:WORD_0 src1_sel:DWORD
	v_cndmask_b32_e32 v17, v17, v8, vcc
; %bb.43:                               ;   in Loop: Header=BB52_3 Depth=1
	s_or_b64 exec, exec, s[6:7]
	v_and_b32_e32 v8, 0xffff0000, v16
	v_lshlrev_b32_e32 v16, 16, v4
	v_mul_f32_e32 v16, v8, v16
	v_and_b32_e32 v8, 0x7f800000, v16
	v_cmp_ne_u32_e32 vcc, s10, v8
                                        ; implicit-def: $vgpr8
	s_and_saveexec_b64 s[6:7], vcc
	s_xor_b64 s[6:7], exec, s[6:7]
; %bb.44:                               ;   in Loop: Header=BB52_3 Depth=1
	v_bfe_u32 v8, v16, 16, 1
	v_add3_u32 v8, v16, v8, s11
                                        ; implicit-def: $vgpr16
; %bb.45:                               ;   in Loop: Header=BB52_3 Depth=1
	s_andn2_saveexec_b64 s[6:7], s[6:7]
; %bb.46:                               ;   in Loop: Header=BB52_3 Depth=1
	v_or_b32_e32 v8, 0x10000, v16
	v_cmp_eq_u32_sdwa vcc, v16, v15 src0_sel:WORD_0 src1_sel:DWORD
	v_cndmask_b32_e32 v8, v8, v16, vcc
; %bb.47:                               ;   in Loop: Header=BB52_3 Depth=1
	s_or_b64 exec, exec, s[6:7]
	v_and_b32_e32 v16, 0xffff0000, v17
	v_and_b32_e32 v4, 0xffff0000, v4
	v_mul_f32_e32 v16, v16, v4
	v_and_b32_e32 v4, 0x7f800000, v16
	v_cmp_ne_u32_e32 vcc, s10, v4
                                        ; implicit-def: $vgpr4
	s_and_saveexec_b64 s[6:7], vcc
	s_xor_b64 s[6:7], exec, s[6:7]
; %bb.48:                               ;   in Loop: Header=BB52_3 Depth=1
	v_bfe_u32 v4, v16, 16, 1
	v_add3_u32 v4, v16, v4, s11
                                        ; implicit-def: $vgpr16
; %bb.49:                               ;   in Loop: Header=BB52_3 Depth=1
	s_andn2_saveexec_b64 s[6:7], s[6:7]
; %bb.50:                               ;   in Loop: Header=BB52_3 Depth=1
	v_or_b32_e32 v4, 0x10000, v16
	v_cmp_eq_u32_sdwa vcc, v16, v15 src0_sel:WORD_0 src1_sel:DWORD
	v_cndmask_b32_e32 v4, v4, v16, vcc
; %bb.51:                               ;   in Loop: Header=BB52_3 Depth=1
	s_or_b64 exec, exec, s[6:7]
	v_lshlrev_b32_e32 v16, 16, v9
	v_cmp_lt_f32_e32 vcc, s1, v16
	v_cndmask_b32_e32 v17, 0, v16, vcc
	v_and_b32_e32 v16, 0x7f800000, v17
	v_cmp_ne_u32_e32 vcc, s10, v16
                                        ; implicit-def: $vgpr16
	s_and_saveexec_b64 s[6:7], vcc
	s_xor_b64 s[6:7], exec, s[6:7]
; %bb.52:                               ;   in Loop: Header=BB52_3 Depth=1
	v_bfe_u32 v16, v17, 16, 1
	v_add3_u32 v16, v17, v16, s11
                                        ; implicit-def: $vgpr17
; %bb.53:                               ;   in Loop: Header=BB52_3 Depth=1
	s_andn2_saveexec_b64 s[6:7], s[6:7]
; %bb.54:                               ;   in Loop: Header=BB52_3 Depth=1
	v_or_b32_e32 v16, 0x10000, v17
	v_cmp_eq_u32_sdwa vcc, v17, v15 src0_sel:WORD_0 src1_sel:DWORD
	v_cndmask_b32_e32 v16, v16, v17, vcc
; %bb.55:                               ;   in Loop: Header=BB52_3 Depth=1
	s_or_b64 exec, exec, s[6:7]
	v_and_b32_e32 v9, 0xffff0000, v9
	v_cmp_lt_f32_e32 vcc, s1, v9
	v_cndmask_b32_e32 v17, 0, v9, vcc
	v_and_b32_e32 v9, 0x7f800000, v17
	v_cmp_ne_u32_e32 vcc, s10, v9
                                        ; implicit-def: $vgpr9
	s_and_saveexec_b64 s[6:7], vcc
	s_xor_b64 s[6:7], exec, s[6:7]
; %bb.56:                               ;   in Loop: Header=BB52_3 Depth=1
	v_bfe_u32 v9, v17, 16, 1
	v_add3_u32 v9, v17, v9, s11
                                        ; implicit-def: $vgpr17
; %bb.57:                               ;   in Loop: Header=BB52_3 Depth=1
	s_andn2_saveexec_b64 s[6:7], s[6:7]
; %bb.58:                               ;   in Loop: Header=BB52_3 Depth=1
	v_or_b32_e32 v9, 0x10000, v17
	v_cmp_eq_u32_sdwa vcc, v17, v15 src0_sel:WORD_0 src1_sel:DWORD
	v_cndmask_b32_e32 v9, v9, v17, vcc
; %bb.59:                               ;   in Loop: Header=BB52_3 Depth=1
	s_or_b64 exec, exec, s[6:7]
	v_and_b32_e32 v16, 0xffff0000, v16
	v_lshlrev_b32_e32 v17, 16, v5
	v_mul_f32_e32 v17, v16, v17
	v_and_b32_e32 v16, 0x7f800000, v17
	v_cmp_ne_u32_e32 vcc, s10, v16
                                        ; implicit-def: $vgpr16
	s_and_saveexec_b64 s[6:7], vcc
	s_xor_b64 s[6:7], exec, s[6:7]
; %bb.60:                               ;   in Loop: Header=BB52_3 Depth=1
	v_bfe_u32 v16, v17, 16, 1
	v_add3_u32 v16, v17, v16, s11
                                        ; implicit-def: $vgpr17
; %bb.61:                               ;   in Loop: Header=BB52_3 Depth=1
	s_andn2_saveexec_b64 s[6:7], s[6:7]
; %bb.62:                               ;   in Loop: Header=BB52_3 Depth=1
	v_or_b32_e32 v16, 0x10000, v17
	v_cmp_eq_u32_sdwa vcc, v17, v15 src0_sel:WORD_0 src1_sel:DWORD
	v_cndmask_b32_e32 v16, v16, v17, vcc
; %bb.63:                               ;   in Loop: Header=BB52_3 Depth=1
	s_or_b64 exec, exec, s[6:7]
	v_and_b32_e32 v9, 0xffff0000, v9
	v_and_b32_e32 v5, 0xffff0000, v5
	v_mul_f32_e32 v5, v9, v5
	v_and_b32_e32 v9, 0x7f800000, v5
	v_cmp_ne_u32_e32 vcc, s10, v9
                                        ; implicit-def: $vgpr9
	s_and_saveexec_b64 s[6:7], vcc
	s_xor_b64 s[6:7], exec, s[6:7]
; %bb.64:                               ;   in Loop: Header=BB52_3 Depth=1
	v_bfe_u32 v9, v5, 16, 1
	v_add3_u32 v9, v5, v9, s11
                                        ; implicit-def: $vgpr5
; %bb.65:                               ;   in Loop: Header=BB52_3 Depth=1
	s_andn2_saveexec_b64 s[6:7], s[6:7]
	s_cbranch_execz .LBB52_2
; %bb.66:                               ;   in Loop: Header=BB52_3 Depth=1
	v_or_b32_e32 v9, 0x10000, v5
	v_cmp_eq_u32_sdwa vcc, v5, v15 src0_sel:WORD_0 src1_sel:DWORD
	v_cndmask_b32_e32 v9, v9, v5, vcc
	s_branch .LBB52_2
.LBB52_67:
	s_endpgm
	.section	.rodata,"a",@progbits
	.p2align	6, 0x0
	.amdhsa_kernel _ZN4vllm29act_and_mul_kernel_with_paramIN3c108BFloat16E15__hip_bfloat162TnPFT_RKS4_fEXadL_ZNS_14fatrelu_kernelIS2_EES4_S6_fEETnPFT0_RKSA_fEXadL_ZNS_21packed_fatrelu_kernelIS3_EES4_S6_fEELb1ELb0EEEvPS4_PS5_if
		.amdhsa_group_segment_fixed_size 0
		.amdhsa_private_segment_fixed_size 0
		.amdhsa_kernarg_size 280
		.amdhsa_user_sgpr_count 6
		.amdhsa_user_sgpr_private_segment_buffer 1
		.amdhsa_user_sgpr_dispatch_ptr 0
		.amdhsa_user_sgpr_queue_ptr 0
		.amdhsa_user_sgpr_kernarg_segment_ptr 1
		.amdhsa_user_sgpr_dispatch_id 0
		.amdhsa_user_sgpr_flat_scratch_init 0
		.amdhsa_user_sgpr_kernarg_preload_length 0
		.amdhsa_user_sgpr_kernarg_preload_offset 0
		.amdhsa_user_sgpr_private_segment_size 0
		.amdhsa_uses_dynamic_stack 0
		.amdhsa_system_sgpr_private_segment_wavefront_offset 0
		.amdhsa_system_sgpr_workgroup_id_x 1
		.amdhsa_system_sgpr_workgroup_id_y 0
		.amdhsa_system_sgpr_workgroup_id_z 0
		.amdhsa_system_sgpr_workgroup_info 0
		.amdhsa_system_vgpr_workitem_id 0
		.amdhsa_next_free_vgpr 18
		.amdhsa_next_free_sgpr 16
		.amdhsa_accum_offset 20
		.amdhsa_reserve_vcc 1
		.amdhsa_reserve_flat_scratch 0
		.amdhsa_float_round_mode_32 0
		.amdhsa_float_round_mode_16_64 0
		.amdhsa_float_denorm_mode_32 3
		.amdhsa_float_denorm_mode_16_64 3
		.amdhsa_dx10_clamp 1
		.amdhsa_ieee_mode 1
		.amdhsa_fp16_overflow 0
		.amdhsa_tg_split 0
		.amdhsa_exception_fp_ieee_invalid_op 0
		.amdhsa_exception_fp_denorm_src 0
		.amdhsa_exception_fp_ieee_div_zero 0
		.amdhsa_exception_fp_ieee_overflow 0
		.amdhsa_exception_fp_ieee_underflow 0
		.amdhsa_exception_fp_ieee_inexact 0
		.amdhsa_exception_int_div_zero 0
	.end_amdhsa_kernel
	.section	.text._ZN4vllm29act_and_mul_kernel_with_paramIN3c108BFloat16E15__hip_bfloat162TnPFT_RKS4_fEXadL_ZNS_14fatrelu_kernelIS2_EES4_S6_fEETnPFT0_RKSA_fEXadL_ZNS_21packed_fatrelu_kernelIS3_EES4_S6_fEELb1ELb0EEEvPS4_PS5_if,"axG",@progbits,_ZN4vllm29act_and_mul_kernel_with_paramIN3c108BFloat16E15__hip_bfloat162TnPFT_RKS4_fEXadL_ZNS_14fatrelu_kernelIS2_EES4_S6_fEETnPFT0_RKSA_fEXadL_ZNS_21packed_fatrelu_kernelIS3_EES4_S6_fEELb1ELb0EEEvPS4_PS5_if,comdat
.Lfunc_end52:
	.size	_ZN4vllm29act_and_mul_kernel_with_paramIN3c108BFloat16E15__hip_bfloat162TnPFT_RKS4_fEXadL_ZNS_14fatrelu_kernelIS2_EES4_S6_fEETnPFT0_RKSA_fEXadL_ZNS_21packed_fatrelu_kernelIS3_EES4_S6_fEELb1ELb0EEEvPS4_PS5_if, .Lfunc_end52-_ZN4vllm29act_and_mul_kernel_with_paramIN3c108BFloat16E15__hip_bfloat162TnPFT_RKS4_fEXadL_ZNS_14fatrelu_kernelIS2_EES4_S6_fEETnPFT0_RKSA_fEXadL_ZNS_21packed_fatrelu_kernelIS3_EES4_S6_fEELb1ELb0EEEvPS4_PS5_if
                                        ; -- End function
	.section	.AMDGPU.csdata,"",@progbits
; Kernel info:
; codeLenInByte = 1612
; NumSgprs: 20
; NumVgprs: 18
; NumAgprs: 0
; TotalNumVgprs: 18
; ScratchSize: 0
; MemoryBound: 0
; FloatMode: 240
; IeeeMode: 1
; LDSByteSize: 0 bytes/workgroup (compile time only)
; SGPRBlocks: 2
; VGPRBlocks: 2
; NumSGPRsForWavesPerEU: 20
; NumVGPRsForWavesPerEU: 18
; AccumOffset: 20
; Occupancy: 8
; WaveLimiterHint : 0
; COMPUTE_PGM_RSRC2:SCRATCH_EN: 0
; COMPUTE_PGM_RSRC2:USER_SGPR: 6
; COMPUTE_PGM_RSRC2:TRAP_HANDLER: 0
; COMPUTE_PGM_RSRC2:TGID_X_EN: 1
; COMPUTE_PGM_RSRC2:TGID_Y_EN: 0
; COMPUTE_PGM_RSRC2:TGID_Z_EN: 0
; COMPUTE_PGM_RSRC2:TIDIG_COMP_CNT: 0
; COMPUTE_PGM_RSRC3_GFX90A:ACCUM_OFFSET: 4
; COMPUTE_PGM_RSRC3_GFX90A:TG_SPLIT: 0
	.section	.text._ZN4vllm29act_and_mul_kernel_with_paramIf15HIP_vector_typeIfLj2EETnPFT_RKS3_fEXadL_ZNS_14fatrelu_kernelIfEES3_S5_fEETnPFT0_RKS9_fEXadL_ZNS_21packed_fatrelu_kernelIS2_EES3_S5_fEELb0ELb0EEEvPS3_PS4_if,"axG",@progbits,_ZN4vllm29act_and_mul_kernel_with_paramIf15HIP_vector_typeIfLj2EETnPFT_RKS3_fEXadL_ZNS_14fatrelu_kernelIfEES3_S5_fEETnPFT0_RKS9_fEXadL_ZNS_21packed_fatrelu_kernelIS2_EES3_S5_fEELb0ELb0EEEvPS3_PS4_if,comdat
	.protected	_ZN4vllm29act_and_mul_kernel_with_paramIf15HIP_vector_typeIfLj2EETnPFT_RKS3_fEXadL_ZNS_14fatrelu_kernelIfEES3_S5_fEETnPFT0_RKS9_fEXadL_ZNS_21packed_fatrelu_kernelIS2_EES3_S5_fEELb0ELb0EEEvPS3_PS4_if ; -- Begin function _ZN4vllm29act_and_mul_kernel_with_paramIf15HIP_vector_typeIfLj2EETnPFT_RKS3_fEXadL_ZNS_14fatrelu_kernelIfEES3_S5_fEETnPFT0_RKS9_fEXadL_ZNS_21packed_fatrelu_kernelIS2_EES3_S5_fEELb0ELb0EEEvPS3_PS4_if
	.globl	_ZN4vllm29act_and_mul_kernel_with_paramIf15HIP_vector_typeIfLj2EETnPFT_RKS3_fEXadL_ZNS_14fatrelu_kernelIfEES3_S5_fEETnPFT0_RKS9_fEXadL_ZNS_21packed_fatrelu_kernelIS2_EES3_S5_fEELb0ELb0EEEvPS3_PS4_if
	.p2align	8
	.type	_ZN4vllm29act_and_mul_kernel_with_paramIf15HIP_vector_typeIfLj2EETnPFT_RKS3_fEXadL_ZNS_14fatrelu_kernelIfEES3_S5_fEETnPFT0_RKS9_fEXadL_ZNS_21packed_fatrelu_kernelIS2_EES3_S5_fEELb0ELb0EEEvPS3_PS4_if,@function
_ZN4vllm29act_and_mul_kernel_with_paramIf15HIP_vector_typeIfLj2EETnPFT_RKS3_fEXadL_ZNS_14fatrelu_kernelIfEES3_S5_fEETnPFT0_RKS9_fEXadL_ZNS_21packed_fatrelu_kernelIS2_EES3_S5_fEELb0ELb0EEEvPS3_PS4_if: ; @_ZN4vllm29act_and_mul_kernel_with_paramIf15HIP_vector_typeIfLj2EETnPFT_RKS3_fEXadL_ZNS_14fatrelu_kernelIfEES3_S5_fEETnPFT0_RKS9_fEXadL_ZNS_21packed_fatrelu_kernelIS2_EES3_S5_fEELb0ELb0EEEvPS3_PS4_if
; %bb.0:
	s_load_dwordx2 s[2:3], s[4:5], 0x10
	s_waitcnt lgkmcnt(0)
	v_cmp_gt_i32_e32 vcc, s2, v0
	s_and_saveexec_b64 s[0:1], vcc
	s_cbranch_execz .LBB53_12
; %bb.1:
	s_load_dword s0, s[4:5], 0x24
	s_ashr_i32 s13, s2, 31
	s_mov_b32 s12, s2
	v_mov_b32_e32 v2, s13
	v_mov_b32_e32 v1, 0
	s_waitcnt lgkmcnt(0)
	s_and_b32 s20, s0, 0xffff
	v_add_co_u32_e32 v4, vcc, s20, v0
	v_addc_co_u32_e64 v5, s[0:1], 0, 0, vcc
	v_cmp_lt_i64_e32 vcc, s[12:13], v[4:5]
	v_cndmask_b32_e32 v6, v2, v5, vcc
	v_mov_b32_e32 v2, s2
	v_cndmask_b32_e32 v3, v2, v4, vcc
	v_cmp_gt_i64_e32 vcc, s[12:13], v[4:5]
	v_cndmask_b32_e64 v2, 0, 1, vcc
	v_add_co_u32_e32 v4, vcc, v4, v2
	v_addc_co_u32_e32 v5, vcc, 0, v5, vcc
	v_sub_co_u32_e32 v3, vcc, v3, v4
	v_subb_co_u32_e32 v5, vcc, v6, v5, vcc
	v_mov_b32_e32 v4, v1
	s_mov_b32 s21, 0
	v_cmp_ne_u64_e32 vcc, 0, v[4:5]
                                        ; implicit-def: $vgpr6_vgpr7
	s_and_saveexec_b64 s[0:1], vcc
	s_xor_b64 s[8:9], exec, s[0:1]
	s_cbranch_execz .LBB53_3
; %bb.2:
	v_cvt_f32_u32_e32 v4, s20
	v_mov_b32_e32 v6, 0x4f800000
	s_sub_u32 s0, 0, s20
	s_subb_u32 s1, 0, 0
	v_mac_f32_e32 v4, 0, v6
	v_rcp_f32_e32 v4, v4
	v_mul_f32_e32 v4, 0x5f7ffffc, v4
	v_mul_f32_e32 v6, 0x2f800000, v4
	v_trunc_f32_e32 v6, v6
	v_madmk_f32 v4, v6, 0xcf800000, v4
	v_cvt_u32_f32_e32 v6, v6
	v_cvt_u32_f32_e32 v4, v4
	v_mul_lo_u32 v7, s0, v6
	v_mul_hi_u32 v9, s0, v4
	v_mul_lo_u32 v8, s1, v4
	v_add_u32_e32 v7, v9, v7
	v_mul_lo_u32 v10, s0, v4
	v_add_u32_e32 v7, v7, v8
	v_mul_hi_u32 v9, v4, v10
	v_mul_lo_u32 v11, v4, v7
	v_mul_hi_u32 v8, v4, v7
	v_add_co_u32_e32 v9, vcc, v9, v11
	v_addc_co_u32_e32 v8, vcc, 0, v8, vcc
	v_mul_hi_u32 v12, v6, v10
	v_mul_lo_u32 v10, v6, v10
	v_add_co_u32_e32 v9, vcc, v9, v10
	v_mul_hi_u32 v11, v6, v7
	v_addc_co_u32_e32 v8, vcc, v8, v12, vcc
	v_addc_co_u32_e32 v9, vcc, 0, v11, vcc
	v_mul_lo_u32 v7, v6, v7
	v_add_co_u32_e32 v7, vcc, v8, v7
	v_addc_co_u32_e32 v8, vcc, 0, v9, vcc
	v_add_co_u32_e32 v4, vcc, v4, v7
	v_addc_co_u32_e32 v6, vcc, v6, v8, vcc
	v_mul_lo_u32 v7, s0, v6
	v_mul_hi_u32 v8, s0, v4
	v_add_u32_e32 v7, v8, v7
	v_mul_lo_u32 v8, s1, v4
	v_add_u32_e32 v7, v7, v8
	v_mul_lo_u32 v9, s0, v4
	v_mul_hi_u32 v10, v6, v9
	v_mul_lo_u32 v11, v6, v9
	v_mul_lo_u32 v13, v4, v7
	v_mul_hi_u32 v9, v4, v9
	v_mul_hi_u32 v12, v4, v7
	v_add_co_u32_e32 v9, vcc, v9, v13
	v_addc_co_u32_e32 v12, vcc, 0, v12, vcc
	v_add_co_u32_e32 v9, vcc, v9, v11
	v_mul_hi_u32 v8, v6, v7
	v_addc_co_u32_e32 v9, vcc, v12, v10, vcc
	v_addc_co_u32_e32 v8, vcc, 0, v8, vcc
	v_mul_lo_u32 v7, v6, v7
	v_add_co_u32_e32 v7, vcc, v9, v7
	v_addc_co_u32_e32 v8, vcc, 0, v8, vcc
	v_add_co_u32_e32 v4, vcc, v4, v7
	v_addc_co_u32_e32 v8, vcc, v6, v8, vcc
	v_mad_u64_u32 v[6:7], s[0:1], v3, v8, 0
	v_mul_hi_u32 v9, v3, v4
	v_add_co_u32_e32 v10, vcc, v9, v6
	v_addc_co_u32_e32 v11, vcc, 0, v7, vcc
	v_mad_u64_u32 v[6:7], s[0:1], v5, v8, 0
	v_mad_u64_u32 v[8:9], s[0:1], v5, v4, 0
	v_add_co_u32_e32 v4, vcc, v10, v8
	v_addc_co_u32_e32 v4, vcc, v11, v9, vcc
	v_addc_co_u32_e32 v7, vcc, 0, v7, vcc
	v_add_co_u32_e32 v10, vcc, v4, v6
	v_addc_co_u32_e32 v11, vcc, 0, v7, vcc
	v_mad_u64_u32 v[6:7], s[0:1], s20, v10, 0
	v_mov_b32_e32 v4, v7
	v_mad_u64_u32 v[8:9], s[0:1], s20, v11, v[4:5]
	v_sub_co_u32_e32 v3, vcc, v3, v6
	v_subb_co_u32_e32 v4, vcc, v5, v8, vcc
	v_subrev_co_u32_e32 v5, vcc, s20, v3
	v_subbrev_co_u32_e32 v6, vcc, 0, v4, vcc
	v_cmp_le_u32_e32 vcc, s20, v5
	v_cndmask_b32_e64 v5, 0, -1, vcc
	v_cmp_eq_u32_e32 vcc, 0, v6
	v_cndmask_b32_e32 v5, -1, v5, vcc
	v_add_co_u32_e32 v6, vcc, 2, v10
	v_addc_co_u32_e32 v7, vcc, 0, v11, vcc
	v_add_co_u32_e32 v8, vcc, 1, v10
	v_cmp_le_u32_e64 s[0:1], s20, v3
	v_addc_co_u32_e32 v9, vcc, 0, v11, vcc
	v_cndmask_b32_e64 v3, 0, -1, s[0:1]
	v_cmp_eq_u32_e64 s[0:1], 0, v4
	v_cmp_ne_u32_e32 vcc, 0, v5
	v_cndmask_b32_e64 v3, -1, v3, s[0:1]
	v_cndmask_b32_e32 v5, v9, v7, vcc
	v_cmp_ne_u32_e64 s[0:1], 0, v3
	v_cndmask_b32_e32 v3, v8, v6, vcc
	v_cndmask_b32_e64 v7, v11, v5, s[0:1]
	v_cndmask_b32_e64 v6, v10, v3, s[0:1]
                                        ; implicit-def: $vgpr3
.LBB53_3:
	s_or_saveexec_b64 s[0:1], s[8:9]
	s_load_dwordx4 s[8:11], s[4:5], 0x0
	s_xor_b64 exec, exec, s[0:1]
	s_cbranch_execz .LBB53_5
; %bb.4:
	v_cvt_f32_u32_e32 v4, s20
	s_sub_i32 s4, 0, s20
	v_mov_b32_e32 v7, 0
	v_rcp_iflag_f32_e32 v4, v4
	v_mul_f32_e32 v4, 0x4f7ffffe, v4
	v_cvt_u32_f32_e32 v4, v4
	v_mul_lo_u32 v5, s4, v4
	v_mul_hi_u32 v5, v4, v5
	v_add_u32_e32 v4, v4, v5
	v_mul_hi_u32 v4, v3, v4
	v_mul_lo_u32 v5, v4, s20
	v_sub_u32_e32 v3, v3, v5
	v_add_u32_e32 v6, 1, v4
	v_subrev_u32_e32 v5, s20, v3
	v_cmp_le_u32_e32 vcc, s20, v3
	v_cndmask_b32_e32 v3, v3, v5, vcc
	v_cndmask_b32_e32 v4, v4, v6, vcc
	v_add_u32_e32 v5, 1, v4
	v_cmp_le_u32_e32 vcc, s20, v3
	v_cndmask_b32_e32 v6, v4, v5, vcc
.LBB53_5:
	s_or_b64 exec, exec, s[0:1]
	v_add_co_u32_e32 v2, vcc, v6, v2
	v_addc_co_u32_e32 v3, vcc, 0, v7, vcc
	v_add_co_u32_e32 v2, vcc, 1, v2
	v_addc_co_u32_e32 v3, vcc, 0, v3, vcc
	s_mul_i32 s4, s6, s2
	s_mov_b32 s7, 0
	v_cmp_lt_u64_e32 vcc, 1, v[2:3]
	v_cmp_eq_u16_e64 s[0:1], s20, 1
	s_lshl_b32 s6, s4, 1
	s_mov_b32 s5, s7
	s_and_b64 s[16:17], vcc, s[0:1]
	s_mov_b64 s[0:1], -1
	s_and_saveexec_b64 s[14:15], s[16:17]
	s_cbranch_execz .LBB53_9
; %bb.6:
	s_lshl_b64 s[0:1], s[6:7], 2
	s_waitcnt lgkmcnt(0)
	s_add_u32 s0, s10, s0
	v_lshlrev_b32_e32 v6, 2, v0
	s_addc_u32 s1, s11, s1
	v_mov_b32_e32 v7, s1
	v_add_co_u32_e32 v8, vcc, s0, v6
	v_addc_co_u32_e32 v9, vcc, 0, v7, vcc
	s_lshl_b64 s[0:1], s[12:13], 2
	s_lshl_b32 s22, s20, 3
	v_mov_b32_e32 v7, s1
	v_add_co_u32_e32 v10, vcc, s0, v8
	s_lshl_b64 s[0:1], s[4:5], 2
	s_add_u32 s0, s8, s0
	v_addc_co_u32_e32 v11, vcc, v9, v7, vcc
	s_addc_u32 s1, s9, s1
	v_and_b32_e32 v4, -2, v2
	v_mov_b32_e32 v5, v3
	v_mov_b32_e32 v7, s1
	v_add_co_u32_e32 v12, vcc, s0, v6
	s_mov_b32 s2, s3
	v_addc_co_u32_e32 v13, vcc, 0, v7, vcc
	s_mov_b64 s[16:17], 0
	s_mov_b64 s[18:19], 0
	v_pk_mov_b32 v[6:7], v[4:5], v[4:5] op_sel:[0,1]
.LBB53_7:                               ; =>This Inner Loop Header: Depth=1
	v_mov_b32_e32 v22, s19
	v_add_co_u32_e64 v16, s[0:1], s18, v8
	v_add_co_u32_e32 v14, vcc, s18, v10
	v_addc_co_u32_e64 v17, s[0:1], v9, v22, s[0:1]
	v_addc_co_u32_e32 v15, vcc, v11, v22, vcc
	global_load_dwordx2 v[18:19], v[16:17], off
	global_load_dwordx2 v[20:21], v[14:15], off
	v_add_co_u32_e32 v6, vcc, -2, v6
	v_addc_co_u32_e32 v7, vcc, -1, v7, vcc
	v_add_co_u32_e32 v14, vcc, s18, v12
	s_add_u32 s18, s18, s22
	v_addc_co_u32_e32 v15, vcc, v13, v22, vcc
	s_addc_u32 s19, s19, 0
	v_cmp_eq_u64_e32 vcc, 0, v[6:7]
	s_or_b64 s[16:17], vcc, s[16:17]
	s_waitcnt vmcnt(1)
	v_cmp_lt_f32_e32 vcc, s3, v19
	v_cndmask_b32_e32 v17, 0, v19, vcc
	v_cmp_lt_f32_e32 vcc, s2, v18
	v_cndmask_b32_e32 v16, 0, v18, vcc
	s_waitcnt vmcnt(0)
	v_pk_mul_f32 v[16:17], v[20:21], v[16:17]
	global_store_dwordx2 v[14:15], v[16:17], off
	s_andn2_b64 exec, exec, s[16:17]
	s_cbranch_execnz .LBB53_7
; %bb.8:
	s_or_b64 exec, exec, s[16:17]
	v_mad_u64_u32 v[0:1], s[0:1], v4, s20, v[0:1]
	v_mov_b32_e32 v6, v1
	v_mad_u64_u32 v[6:7], s[0:1], v5, s20, v[6:7]
	v_cmp_ne_u64_e32 vcc, v[2:3], v[4:5]
	v_mov_b32_e32 v1, v6
	s_orn2_b64 s[0:1], vcc, exec
.LBB53_9:
	s_or_b64 exec, exec, s[14:15]
	s_and_b64 exec, exec, s[0:1]
	s_cbranch_execz .LBB53_12
; %bb.10:
	s_lshl_b64 s[0:1], s[6:7], 2
	s_waitcnt lgkmcnt(0)
	s_add_u32 s2, s10, s0
	s_addc_u32 s7, s11, s1
	s_lshl_b64 s[0:1], s[12:13], 2
	s_add_u32 s6, s2, s0
	s_addc_u32 s10, s7, s1
	s_lshl_b64 s[0:1], s[4:5], 2
	s_add_u32 s4, s8, s0
	s_addc_u32 s8, s9, s1
	s_mov_b32 s9, 0
	v_lshlrev_b64 v[2:3], 2, v[0:1]
	s_lshl_b32 s5, s20, 2
	s_mov_b64 s[0:1], 0
	v_mov_b32_e32 v4, s7
	v_mov_b32_e32 v5, s10
	;; [unrolled: 1-line block ×5, first 2 shown]
.LBB53_11:                              ; =>This Inner Loop Header: Depth=1
	v_add_co_u32_e32 v10, vcc, s2, v2
	v_addc_co_u32_e32 v11, vcc, v4, v3, vcc
	v_add_co_u32_e32 v12, vcc, s6, v2
	v_addc_co_u32_e32 v13, vcc, v5, v3, vcc
	global_load_dword v9, v[10:11], off
	global_load_dword v14, v[12:13], off
	v_add_co_u32_e32 v10, vcc, s4, v2
	v_addc_co_u32_e32 v11, vcc, v6, v3, vcc
	v_add_co_u32_e32 v0, vcc, s20, v0
	v_addc_co_u32_e32 v1, vcc, v1, v7, vcc
	;; [unrolled: 2-line block ×3, first 2 shown]
	v_cmp_le_i64_e32 vcc, s[12:13], v[0:1]
	s_or_b64 s[0:1], vcc, s[0:1]
	s_waitcnt vmcnt(1)
	v_cmp_lt_f32_e32 vcc, s3, v9
	v_cndmask_b32_e32 v9, 0, v9, vcc
	s_waitcnt vmcnt(0)
	v_mul_f32_e32 v9, v14, v9
	global_store_dword v[10:11], v9, off
	s_andn2_b64 exec, exec, s[0:1]
	s_cbranch_execnz .LBB53_11
.LBB53_12:
	s_endpgm
	.section	.rodata,"a",@progbits
	.p2align	6, 0x0
	.amdhsa_kernel _ZN4vllm29act_and_mul_kernel_with_paramIf15HIP_vector_typeIfLj2EETnPFT_RKS3_fEXadL_ZNS_14fatrelu_kernelIfEES3_S5_fEETnPFT0_RKS9_fEXadL_ZNS_21packed_fatrelu_kernelIS2_EES3_S5_fEELb0ELb0EEEvPS3_PS4_if
		.amdhsa_group_segment_fixed_size 0
		.amdhsa_private_segment_fixed_size 0
		.amdhsa_kernarg_size 280
		.amdhsa_user_sgpr_count 6
		.amdhsa_user_sgpr_private_segment_buffer 1
		.amdhsa_user_sgpr_dispatch_ptr 0
		.amdhsa_user_sgpr_queue_ptr 0
		.amdhsa_user_sgpr_kernarg_segment_ptr 1
		.amdhsa_user_sgpr_dispatch_id 0
		.amdhsa_user_sgpr_flat_scratch_init 0
		.amdhsa_user_sgpr_kernarg_preload_length 0
		.amdhsa_user_sgpr_kernarg_preload_offset 0
		.amdhsa_user_sgpr_private_segment_size 0
		.amdhsa_uses_dynamic_stack 0
		.amdhsa_system_sgpr_private_segment_wavefront_offset 0
		.amdhsa_system_sgpr_workgroup_id_x 1
		.amdhsa_system_sgpr_workgroup_id_y 0
		.amdhsa_system_sgpr_workgroup_id_z 0
		.amdhsa_system_sgpr_workgroup_info 0
		.amdhsa_system_vgpr_workitem_id 0
		.amdhsa_next_free_vgpr 23
		.amdhsa_next_free_sgpr 23
		.amdhsa_accum_offset 24
		.amdhsa_reserve_vcc 1
		.amdhsa_reserve_flat_scratch 0
		.amdhsa_float_round_mode_32 0
		.amdhsa_float_round_mode_16_64 0
		.amdhsa_float_denorm_mode_32 3
		.amdhsa_float_denorm_mode_16_64 3
		.amdhsa_dx10_clamp 1
		.amdhsa_ieee_mode 1
		.amdhsa_fp16_overflow 0
		.amdhsa_tg_split 0
		.amdhsa_exception_fp_ieee_invalid_op 0
		.amdhsa_exception_fp_denorm_src 0
		.amdhsa_exception_fp_ieee_div_zero 0
		.amdhsa_exception_fp_ieee_overflow 0
		.amdhsa_exception_fp_ieee_underflow 0
		.amdhsa_exception_fp_ieee_inexact 0
		.amdhsa_exception_int_div_zero 0
	.end_amdhsa_kernel
	.section	.text._ZN4vllm29act_and_mul_kernel_with_paramIf15HIP_vector_typeIfLj2EETnPFT_RKS3_fEXadL_ZNS_14fatrelu_kernelIfEES3_S5_fEETnPFT0_RKS9_fEXadL_ZNS_21packed_fatrelu_kernelIS2_EES3_S5_fEELb0ELb0EEEvPS3_PS4_if,"axG",@progbits,_ZN4vllm29act_and_mul_kernel_with_paramIf15HIP_vector_typeIfLj2EETnPFT_RKS3_fEXadL_ZNS_14fatrelu_kernelIfEES3_S5_fEETnPFT0_RKS9_fEXadL_ZNS_21packed_fatrelu_kernelIS2_EES3_S5_fEELb0ELb0EEEvPS3_PS4_if,comdat
.Lfunc_end53:
	.size	_ZN4vllm29act_and_mul_kernel_with_paramIf15HIP_vector_typeIfLj2EETnPFT_RKS3_fEXadL_ZNS_14fatrelu_kernelIfEES3_S5_fEETnPFT0_RKS9_fEXadL_ZNS_21packed_fatrelu_kernelIS2_EES3_S5_fEELb0ELb0EEEvPS3_PS4_if, .Lfunc_end53-_ZN4vllm29act_and_mul_kernel_with_paramIf15HIP_vector_typeIfLj2EETnPFT_RKS3_fEXadL_ZNS_14fatrelu_kernelIfEES3_S5_fEETnPFT0_RKS9_fEXadL_ZNS_21packed_fatrelu_kernelIS2_EES3_S5_fEELb0ELb0EEEvPS3_PS4_if
                                        ; -- End function
	.section	.AMDGPU.csdata,"",@progbits
; Kernel info:
; codeLenInByte = 1316
; NumSgprs: 27
; NumVgprs: 23
; NumAgprs: 0
; TotalNumVgprs: 23
; ScratchSize: 0
; MemoryBound: 0
; FloatMode: 240
; IeeeMode: 1
; LDSByteSize: 0 bytes/workgroup (compile time only)
; SGPRBlocks: 3
; VGPRBlocks: 2
; NumSGPRsForWavesPerEU: 27
; NumVGPRsForWavesPerEU: 23
; AccumOffset: 24
; Occupancy: 8
; WaveLimiterHint : 0
; COMPUTE_PGM_RSRC2:SCRATCH_EN: 0
; COMPUTE_PGM_RSRC2:USER_SGPR: 6
; COMPUTE_PGM_RSRC2:TRAP_HANDLER: 0
; COMPUTE_PGM_RSRC2:TGID_X_EN: 1
; COMPUTE_PGM_RSRC2:TGID_Y_EN: 0
; COMPUTE_PGM_RSRC2:TGID_Z_EN: 0
; COMPUTE_PGM_RSRC2:TIDIG_COMP_CNT: 0
; COMPUTE_PGM_RSRC3_GFX90A:ACCUM_OFFSET: 5
; COMPUTE_PGM_RSRC3_GFX90A:TG_SPLIT: 0
	.section	.text._ZN4vllm29act_and_mul_kernel_with_paramIN3c104HalfE7__half2TnPFT_RKS4_fEXadL_ZNS_14fatrelu_kernelIS2_EES4_S6_fEETnPFT0_RKSA_fEXadL_ZNS_21packed_fatrelu_kernelIS3_EES4_S6_fEELb0ELb0EEEvPS4_PS5_if,"axG",@progbits,_ZN4vllm29act_and_mul_kernel_with_paramIN3c104HalfE7__half2TnPFT_RKS4_fEXadL_ZNS_14fatrelu_kernelIS2_EES4_S6_fEETnPFT0_RKSA_fEXadL_ZNS_21packed_fatrelu_kernelIS3_EES4_S6_fEELb0ELb0EEEvPS4_PS5_if,comdat
	.protected	_ZN4vllm29act_and_mul_kernel_with_paramIN3c104HalfE7__half2TnPFT_RKS4_fEXadL_ZNS_14fatrelu_kernelIS2_EES4_S6_fEETnPFT0_RKSA_fEXadL_ZNS_21packed_fatrelu_kernelIS3_EES4_S6_fEELb0ELb0EEEvPS4_PS5_if ; -- Begin function _ZN4vllm29act_and_mul_kernel_with_paramIN3c104HalfE7__half2TnPFT_RKS4_fEXadL_ZNS_14fatrelu_kernelIS2_EES4_S6_fEETnPFT0_RKSA_fEXadL_ZNS_21packed_fatrelu_kernelIS3_EES4_S6_fEELb0ELb0EEEvPS4_PS5_if
	.globl	_ZN4vllm29act_and_mul_kernel_with_paramIN3c104HalfE7__half2TnPFT_RKS4_fEXadL_ZNS_14fatrelu_kernelIS2_EES4_S6_fEETnPFT0_RKSA_fEXadL_ZNS_21packed_fatrelu_kernelIS3_EES4_S6_fEELb0ELb0EEEvPS4_PS5_if
	.p2align	8
	.type	_ZN4vllm29act_and_mul_kernel_with_paramIN3c104HalfE7__half2TnPFT_RKS4_fEXadL_ZNS_14fatrelu_kernelIS2_EES4_S6_fEETnPFT0_RKSA_fEXadL_ZNS_21packed_fatrelu_kernelIS3_EES4_S6_fEELb0ELb0EEEvPS4_PS5_if,@function
_ZN4vllm29act_and_mul_kernel_with_paramIN3c104HalfE7__half2TnPFT_RKS4_fEXadL_ZNS_14fatrelu_kernelIS2_EES4_S6_fEETnPFT0_RKSA_fEXadL_ZNS_21packed_fatrelu_kernelIS3_EES4_S6_fEELb0ELb0EEEvPS4_PS5_if: ; @_ZN4vllm29act_and_mul_kernel_with_paramIN3c104HalfE7__half2TnPFT_RKS4_fEXadL_ZNS_14fatrelu_kernelIS2_EES4_S6_fEETnPFT0_RKSA_fEXadL_ZNS_21packed_fatrelu_kernelIS3_EES4_S6_fEELb0ELb0EEEvPS4_PS5_if
; %bb.0:
	s_load_dwordx2 s[8:9], s[4:5], 0x10
	s_waitcnt lgkmcnt(0)
	v_cmp_gt_i32_e32 vcc, s8, v0
	s_and_saveexec_b64 s[0:1], vcc
	s_cbranch_execz .LBB54_12
; %bb.1:
	s_load_dword s0, s[4:5], 0x24
	s_ashr_i32 s11, s8, 31
	s_mov_b32 s10, s8
	v_mov_b32_e32 v2, s11
	v_mov_b32_e32 v1, 0
	s_waitcnt lgkmcnt(0)
	s_and_b32 s18, s0, 0xffff
	v_add_co_u32_e32 v4, vcc, s18, v0
	v_addc_co_u32_e64 v5, s[0:1], 0, 0, vcc
	v_cmp_lt_i64_e32 vcc, s[10:11], v[4:5]
	v_cndmask_b32_e32 v6, v2, v5, vcc
	v_mov_b32_e32 v2, s8
	v_cndmask_b32_e32 v3, v2, v4, vcc
	v_cmp_gt_i64_e32 vcc, s[10:11], v[4:5]
	v_cndmask_b32_e64 v2, 0, 1, vcc
	v_add_co_u32_e32 v4, vcc, v4, v2
	v_addc_co_u32_e32 v5, vcc, 0, v5, vcc
	v_sub_co_u32_e32 v3, vcc, v3, v4
	v_subb_co_u32_e32 v5, vcc, v6, v5, vcc
	v_mov_b32_e32 v4, v1
	s_mov_b32 s19, 0
	v_cmp_ne_u64_e32 vcc, 0, v[4:5]
                                        ; implicit-def: $vgpr6_vgpr7
	s_and_saveexec_b64 s[0:1], vcc
	s_xor_b64 s[2:3], exec, s[0:1]
	s_cbranch_execz .LBB54_3
; %bb.2:
	v_cvt_f32_u32_e32 v4, s18
	v_mov_b32_e32 v6, 0x4f800000
	s_sub_u32 s0, 0, s18
	s_subb_u32 s1, 0, 0
	v_mac_f32_e32 v4, 0, v6
	v_rcp_f32_e32 v4, v4
	v_mul_f32_e32 v4, 0x5f7ffffc, v4
	v_mul_f32_e32 v6, 0x2f800000, v4
	v_trunc_f32_e32 v6, v6
	v_madmk_f32 v4, v6, 0xcf800000, v4
	v_cvt_u32_f32_e32 v6, v6
	v_cvt_u32_f32_e32 v4, v4
	v_mul_lo_u32 v7, s0, v6
	v_mul_hi_u32 v9, s0, v4
	v_mul_lo_u32 v8, s1, v4
	v_add_u32_e32 v7, v9, v7
	v_mul_lo_u32 v10, s0, v4
	v_add_u32_e32 v7, v7, v8
	v_mul_hi_u32 v9, v4, v10
	v_mul_lo_u32 v11, v4, v7
	v_mul_hi_u32 v8, v4, v7
	v_add_co_u32_e32 v9, vcc, v9, v11
	v_addc_co_u32_e32 v8, vcc, 0, v8, vcc
	v_mul_hi_u32 v12, v6, v10
	v_mul_lo_u32 v10, v6, v10
	v_add_co_u32_e32 v9, vcc, v9, v10
	v_mul_hi_u32 v11, v6, v7
	v_addc_co_u32_e32 v8, vcc, v8, v12, vcc
	v_addc_co_u32_e32 v9, vcc, 0, v11, vcc
	v_mul_lo_u32 v7, v6, v7
	v_add_co_u32_e32 v7, vcc, v8, v7
	v_addc_co_u32_e32 v8, vcc, 0, v9, vcc
	v_add_co_u32_e32 v4, vcc, v4, v7
	v_addc_co_u32_e32 v6, vcc, v6, v8, vcc
	v_mul_lo_u32 v7, s0, v6
	v_mul_hi_u32 v8, s0, v4
	v_add_u32_e32 v7, v8, v7
	v_mul_lo_u32 v8, s1, v4
	v_add_u32_e32 v7, v7, v8
	v_mul_lo_u32 v9, s0, v4
	v_mul_hi_u32 v10, v6, v9
	v_mul_lo_u32 v11, v6, v9
	v_mul_lo_u32 v13, v4, v7
	v_mul_hi_u32 v9, v4, v9
	v_mul_hi_u32 v12, v4, v7
	v_add_co_u32_e32 v9, vcc, v9, v13
	v_addc_co_u32_e32 v12, vcc, 0, v12, vcc
	v_add_co_u32_e32 v9, vcc, v9, v11
	v_mul_hi_u32 v8, v6, v7
	v_addc_co_u32_e32 v9, vcc, v12, v10, vcc
	v_addc_co_u32_e32 v8, vcc, 0, v8, vcc
	v_mul_lo_u32 v7, v6, v7
	v_add_co_u32_e32 v7, vcc, v9, v7
	v_addc_co_u32_e32 v8, vcc, 0, v8, vcc
	v_add_co_u32_e32 v4, vcc, v4, v7
	v_addc_co_u32_e32 v8, vcc, v6, v8, vcc
	v_mad_u64_u32 v[6:7], s[0:1], v3, v8, 0
	v_mul_hi_u32 v9, v3, v4
	v_add_co_u32_e32 v10, vcc, v9, v6
	v_addc_co_u32_e32 v11, vcc, 0, v7, vcc
	v_mad_u64_u32 v[6:7], s[0:1], v5, v8, 0
	v_mad_u64_u32 v[8:9], s[0:1], v5, v4, 0
	v_add_co_u32_e32 v4, vcc, v10, v8
	v_addc_co_u32_e32 v4, vcc, v11, v9, vcc
	v_addc_co_u32_e32 v7, vcc, 0, v7, vcc
	v_add_co_u32_e32 v10, vcc, v4, v6
	v_addc_co_u32_e32 v11, vcc, 0, v7, vcc
	v_mad_u64_u32 v[6:7], s[0:1], s18, v10, 0
	v_mov_b32_e32 v4, v7
	v_mad_u64_u32 v[8:9], s[0:1], s18, v11, v[4:5]
	v_sub_co_u32_e32 v3, vcc, v3, v6
	v_subb_co_u32_e32 v4, vcc, v5, v8, vcc
	v_subrev_co_u32_e32 v5, vcc, s18, v3
	v_subbrev_co_u32_e32 v6, vcc, 0, v4, vcc
	v_cmp_le_u32_e32 vcc, s18, v5
	v_cndmask_b32_e64 v5, 0, -1, vcc
	v_cmp_eq_u32_e32 vcc, 0, v6
	v_cndmask_b32_e32 v5, -1, v5, vcc
	v_add_co_u32_e32 v6, vcc, 2, v10
	v_addc_co_u32_e32 v7, vcc, 0, v11, vcc
	v_add_co_u32_e32 v8, vcc, 1, v10
	v_cmp_le_u32_e64 s[0:1], s18, v3
	v_addc_co_u32_e32 v9, vcc, 0, v11, vcc
	v_cndmask_b32_e64 v3, 0, -1, s[0:1]
	v_cmp_eq_u32_e64 s[0:1], 0, v4
	v_cmp_ne_u32_e32 vcc, 0, v5
	v_cndmask_b32_e64 v3, -1, v3, s[0:1]
	v_cndmask_b32_e32 v5, v9, v7, vcc
	v_cmp_ne_u32_e64 s[0:1], 0, v3
	v_cndmask_b32_e32 v3, v8, v6, vcc
	v_cndmask_b32_e64 v7, v11, v5, s[0:1]
	v_cndmask_b32_e64 v6, v10, v3, s[0:1]
                                        ; implicit-def: $vgpr3
.LBB54_3:
	s_or_saveexec_b64 s[12:13], s[2:3]
	s_load_dwordx4 s[0:3], s[4:5], 0x0
	s_xor_b64 exec, exec, s[12:13]
	s_cbranch_execz .LBB54_5
; %bb.4:
	v_cvt_f32_u32_e32 v4, s18
	s_sub_i32 s4, 0, s18
	v_mov_b32_e32 v7, 0
	v_rcp_iflag_f32_e32 v4, v4
	v_mul_f32_e32 v4, 0x4f7ffffe, v4
	v_cvt_u32_f32_e32 v4, v4
	v_mul_lo_u32 v5, s4, v4
	v_mul_hi_u32 v5, v4, v5
	v_add_u32_e32 v4, v4, v5
	v_mul_hi_u32 v4, v3, v4
	v_mul_lo_u32 v5, v4, s18
	v_sub_u32_e32 v3, v3, v5
	v_add_u32_e32 v6, 1, v4
	v_subrev_u32_e32 v5, s18, v3
	v_cmp_le_u32_e32 vcc, s18, v3
	v_cndmask_b32_e32 v3, v3, v5, vcc
	v_cndmask_b32_e32 v4, v4, v6, vcc
	v_add_u32_e32 v5, 1, v4
	v_cmp_le_u32_e32 vcc, s18, v3
	v_cndmask_b32_e32 v6, v4, v5, vcc
.LBB54_5:
	s_or_b64 exec, exec, s[12:13]
	v_add_co_u32_e32 v2, vcc, v6, v2
	v_addc_co_u32_e32 v3, vcc, 0, v7, vcc
	v_add_co_u32_e32 v2, vcc, 1, v2
	v_addc_co_u32_e32 v3, vcc, 0, v3, vcc
	s_mul_i32 s4, s6, s8
	s_mov_b32 s7, 0
	v_cmp_lt_u64_e32 vcc, 3, v[2:3]
	v_cmp_eq_u16_e64 s[12:13], s18, 1
	s_lshl_b32 s6, s4, 1
	s_mov_b32 s5, s7
	s_and_b64 s[16:17], vcc, s[12:13]
	s_mov_b64 s[14:15], -1
	s_and_saveexec_b64 s[12:13], s[16:17]
	s_cbranch_execz .LBB54_9
; %bb.6:
	s_lshl_b64 s[14:15], s[6:7], 1
	s_waitcnt lgkmcnt(0)
	s_add_u32 s14, s2, s14
	v_lshlrev_b32_e32 v6, 1, v0
	s_addc_u32 s15, s3, s15
	v_mov_b32_e32 v7, s15
	v_add_co_u32_e32 v8, vcc, s14, v6
	v_addc_co_u32_e32 v9, vcc, 0, v7, vcc
	s_lshl_b64 s[14:15], s[10:11], 1
	s_lshl_b32 s22, s18, 3
	v_mov_b32_e32 v7, s15
	v_add_co_u32_e32 v10, vcc, s14, v8
	s_lshl_b64 s[14:15], s[4:5], 1
	s_add_u32 s14, s0, s14
	v_addc_co_u32_e32 v11, vcc, v9, v7, vcc
	s_addc_u32 s15, s1, s15
	v_and_b32_e32 v4, -4, v2
	v_mov_b32_e32 v5, v3
	v_mov_b32_e32 v7, s15
	v_add_co_u32_e32 v12, vcc, s14, v6
	s_mov_b32 s8, s9
	s_mov_b32 s20, s9
	;; [unrolled: 1-line block ×3, first 2 shown]
	v_addc_co_u32_e32 v13, vcc, 0, v7, vcc
	s_mov_b64 s[14:15], 0
	s_mov_b32 s23, 0x5040100
	s_mov_b64 s[16:17], 0
	v_pk_mov_b32 v[6:7], v[4:5], v[4:5] op_sel:[0,1]
.LBB54_7:                               ; =>This Inner Loop Header: Depth=1
	v_mov_b32_e32 v19, s17
	v_add_co_u32_e32 v14, vcc, s16, v8
	v_addc_co_u32_e32 v15, vcc, v9, v19, vcc
	global_load_dwordx2 v[14:15], v[14:15], off
	v_add_co_u32_e32 v16, vcc, s16, v10
	v_addc_co_u32_e32 v17, vcc, v11, v19, vcc
	global_load_dwordx2 v[16:17], v[16:17], off
	v_add_co_u32_e32 v6, vcc, -4, v6
	v_addc_co_u32_e32 v7, vcc, -1, v7, vcc
	v_add_co_u32_e32 v18, vcc, s16, v12
	s_add_u32 s16, s16, s22
	v_addc_co_u32_e32 v19, vcc, v13, v19, vcc
	s_addc_u32 s17, s17, 0
	v_cmp_eq_u64_e32 vcc, 0, v[6:7]
	s_or_b64 s[14:15], vcc, s[14:15]
	s_waitcnt vmcnt(1)
	v_cvt_f32_f16_e32 v20, v14
	v_lshrrev_b32_e32 v21, 16, v14
	v_cvt_f32_f16_e32 v22, v15
	v_lshrrev_b32_e32 v23, 16, v15
	v_cvt_f32_f16_e32 v24, v21
	v_cvt_f32_f16_e32 v25, v23
	v_cmp_lt_f32_e32 vcc, s8, v20
	v_cndmask_b32_e32 v14, 0, v14, vcc
	v_cmp_lt_f32_e32 vcc, s20, v22
	v_cndmask_b32_e32 v15, 0, v15, vcc
	;; [unrolled: 2-line block ×4, first 2 shown]
	v_perm_b32 v15, v21, v15, s23
	v_perm_b32 v14, v20, v14, s23
	s_waitcnt vmcnt(0)
	v_pk_mul_f16 v15, v17, v15
	v_pk_mul_f16 v14, v16, v14
	global_store_dwordx2 v[18:19], v[14:15], off
	s_andn2_b64 exec, exec, s[14:15]
	s_cbranch_execnz .LBB54_7
; %bb.8:
	s_or_b64 exec, exec, s[14:15]
	v_mad_u64_u32 v[0:1], s[14:15], v4, s18, v[0:1]
	v_mov_b32_e32 v6, v1
	v_mad_u64_u32 v[6:7], s[14:15], v5, s18, v[6:7]
	v_cmp_ne_u64_e32 vcc, v[2:3], v[4:5]
	v_mov_b32_e32 v1, v6
	s_orn2_b64 s[14:15], vcc, exec
.LBB54_9:
	s_or_b64 exec, exec, s[12:13]
	s_and_b64 exec, exec, s[14:15]
	s_cbranch_execz .LBB54_12
; %bb.10:
	s_lshl_b64 s[6:7], s[6:7], 1
	s_waitcnt lgkmcnt(0)
	s_add_u32 s2, s2, s6
	s_addc_u32 s8, s3, s7
	s_lshl_b64 s[6:7], s[10:11], 1
	s_add_u32 s3, s2, s6
	s_addc_u32 s6, s8, s7
	s_lshl_b64 s[4:5], s[4:5], 1
	s_add_u32 s4, s0, s4
	s_addc_u32 s7, s1, s5
	s_mov_b32 s12, 0
	v_lshlrev_b64 v[2:3], 1, v[0:1]
	s_lshl_b32 s5, s18, 1
	s_mov_b64 s[0:1], 0
	v_mov_b32_e32 v4, s8
	v_mov_b32_e32 v5, s6
	;; [unrolled: 1-line block ×5, first 2 shown]
.LBB54_11:                              ; =>This Inner Loop Header: Depth=1
	v_add_co_u32_e32 v10, vcc, s2, v2
	v_addc_co_u32_e32 v11, vcc, v4, v3, vcc
	global_load_ushort v9, v[10:11], off
	v_add_co_u32_e32 v10, vcc, s3, v2
	v_addc_co_u32_e32 v11, vcc, v5, v3, vcc
	global_load_ushort v12, v[10:11], off
	v_add_co_u32_e32 v10, vcc, s4, v2
	v_addc_co_u32_e32 v11, vcc, v6, v3, vcc
	v_add_co_u32_e32 v0, vcc, s18, v0
	v_addc_co_u32_e32 v1, vcc, v1, v7, vcc
	;; [unrolled: 2-line block ×3, first 2 shown]
	v_cmp_le_i64_e32 vcc, s[10:11], v[0:1]
	s_or_b64 s[0:1], vcc, s[0:1]
	s_waitcnt vmcnt(1)
	v_cvt_f32_f16_e32 v13, v9
	v_cmp_lt_f32_e32 vcc, s9, v13
	v_cndmask_b32_e32 v9, 0, v9, vcc
	s_waitcnt vmcnt(0)
	v_mul_f16_e32 v9, v12, v9
	global_store_short v[10:11], v9, off
	s_andn2_b64 exec, exec, s[0:1]
	s_cbranch_execnz .LBB54_11
.LBB54_12:
	s_endpgm
	.section	.rodata,"a",@progbits
	.p2align	6, 0x0
	.amdhsa_kernel _ZN4vllm29act_and_mul_kernel_with_paramIN3c104HalfE7__half2TnPFT_RKS4_fEXadL_ZNS_14fatrelu_kernelIS2_EES4_S6_fEETnPFT0_RKSA_fEXadL_ZNS_21packed_fatrelu_kernelIS3_EES4_S6_fEELb0ELb0EEEvPS4_PS5_if
		.amdhsa_group_segment_fixed_size 0
		.amdhsa_private_segment_fixed_size 0
		.amdhsa_kernarg_size 280
		.amdhsa_user_sgpr_count 6
		.amdhsa_user_sgpr_private_segment_buffer 1
		.amdhsa_user_sgpr_dispatch_ptr 0
		.amdhsa_user_sgpr_queue_ptr 0
		.amdhsa_user_sgpr_kernarg_segment_ptr 1
		.amdhsa_user_sgpr_dispatch_id 0
		.amdhsa_user_sgpr_flat_scratch_init 0
		.amdhsa_user_sgpr_kernarg_preload_length 0
		.amdhsa_user_sgpr_kernarg_preload_offset 0
		.amdhsa_user_sgpr_private_segment_size 0
		.amdhsa_uses_dynamic_stack 0
		.amdhsa_system_sgpr_private_segment_wavefront_offset 0
		.amdhsa_system_sgpr_workgroup_id_x 1
		.amdhsa_system_sgpr_workgroup_id_y 0
		.amdhsa_system_sgpr_workgroup_id_z 0
		.amdhsa_system_sgpr_workgroup_info 0
		.amdhsa_system_vgpr_workitem_id 0
		.amdhsa_next_free_vgpr 26
		.amdhsa_next_free_sgpr 24
		.amdhsa_accum_offset 28
		.amdhsa_reserve_vcc 1
		.amdhsa_reserve_flat_scratch 0
		.amdhsa_float_round_mode_32 0
		.amdhsa_float_round_mode_16_64 0
		.amdhsa_float_denorm_mode_32 3
		.amdhsa_float_denorm_mode_16_64 3
		.amdhsa_dx10_clamp 1
		.amdhsa_ieee_mode 1
		.amdhsa_fp16_overflow 0
		.amdhsa_tg_split 0
		.amdhsa_exception_fp_ieee_invalid_op 0
		.amdhsa_exception_fp_denorm_src 0
		.amdhsa_exception_fp_ieee_div_zero 0
		.amdhsa_exception_fp_ieee_overflow 0
		.amdhsa_exception_fp_ieee_underflow 0
		.amdhsa_exception_fp_ieee_inexact 0
		.amdhsa_exception_int_div_zero 0
	.end_amdhsa_kernel
	.section	.text._ZN4vllm29act_and_mul_kernel_with_paramIN3c104HalfE7__half2TnPFT_RKS4_fEXadL_ZNS_14fatrelu_kernelIS2_EES4_S6_fEETnPFT0_RKSA_fEXadL_ZNS_21packed_fatrelu_kernelIS3_EES4_S6_fEELb0ELb0EEEvPS4_PS5_if,"axG",@progbits,_ZN4vllm29act_and_mul_kernel_with_paramIN3c104HalfE7__half2TnPFT_RKS4_fEXadL_ZNS_14fatrelu_kernelIS2_EES4_S6_fEETnPFT0_RKSA_fEXadL_ZNS_21packed_fatrelu_kernelIS3_EES4_S6_fEELb0ELb0EEEvPS4_PS5_if,comdat
.Lfunc_end54:
	.size	_ZN4vllm29act_and_mul_kernel_with_paramIN3c104HalfE7__half2TnPFT_RKS4_fEXadL_ZNS_14fatrelu_kernelIS2_EES4_S6_fEETnPFT0_RKSA_fEXadL_ZNS_21packed_fatrelu_kernelIS3_EES4_S6_fEELb0ELb0EEEvPS4_PS5_if, .Lfunc_end54-_ZN4vllm29act_and_mul_kernel_with_paramIN3c104HalfE7__half2TnPFT_RKS4_fEXadL_ZNS_14fatrelu_kernelIS2_EES4_S6_fEETnPFT0_RKSA_fEXadL_ZNS_21packed_fatrelu_kernelIS3_EES4_S6_fEELb0ELb0EEEvPS4_PS5_if
                                        ; -- End function
	.section	.AMDGPU.csdata,"",@progbits
; Kernel info:
; codeLenInByte = 1392
; NumSgprs: 28
; NumVgprs: 26
; NumAgprs: 0
; TotalNumVgprs: 26
; ScratchSize: 0
; MemoryBound: 0
; FloatMode: 240
; IeeeMode: 1
; LDSByteSize: 0 bytes/workgroup (compile time only)
; SGPRBlocks: 3
; VGPRBlocks: 3
; NumSGPRsForWavesPerEU: 28
; NumVGPRsForWavesPerEU: 26
; AccumOffset: 28
; Occupancy: 8
; WaveLimiterHint : 0
; COMPUTE_PGM_RSRC2:SCRATCH_EN: 0
; COMPUTE_PGM_RSRC2:USER_SGPR: 6
; COMPUTE_PGM_RSRC2:TRAP_HANDLER: 0
; COMPUTE_PGM_RSRC2:TGID_X_EN: 1
; COMPUTE_PGM_RSRC2:TGID_Y_EN: 0
; COMPUTE_PGM_RSRC2:TGID_Z_EN: 0
; COMPUTE_PGM_RSRC2:TIDIG_COMP_CNT: 0
; COMPUTE_PGM_RSRC3_GFX90A:ACCUM_OFFSET: 6
; COMPUTE_PGM_RSRC3_GFX90A:TG_SPLIT: 0
	.section	.text._ZN4vllm29act_and_mul_kernel_with_paramIN3c108BFloat16E15__hip_bfloat162TnPFT_RKS4_fEXadL_ZNS_14fatrelu_kernelIS2_EES4_S6_fEETnPFT0_RKSA_fEXadL_ZNS_21packed_fatrelu_kernelIS3_EES4_S6_fEELb0ELb0EEEvPS4_PS5_if,"axG",@progbits,_ZN4vllm29act_and_mul_kernel_with_paramIN3c108BFloat16E15__hip_bfloat162TnPFT_RKS4_fEXadL_ZNS_14fatrelu_kernelIS2_EES4_S6_fEETnPFT0_RKSA_fEXadL_ZNS_21packed_fatrelu_kernelIS3_EES4_S6_fEELb0ELb0EEEvPS4_PS5_if,comdat
	.protected	_ZN4vllm29act_and_mul_kernel_with_paramIN3c108BFloat16E15__hip_bfloat162TnPFT_RKS4_fEXadL_ZNS_14fatrelu_kernelIS2_EES4_S6_fEETnPFT0_RKSA_fEXadL_ZNS_21packed_fatrelu_kernelIS3_EES4_S6_fEELb0ELb0EEEvPS4_PS5_if ; -- Begin function _ZN4vllm29act_and_mul_kernel_with_paramIN3c108BFloat16E15__hip_bfloat162TnPFT_RKS4_fEXadL_ZNS_14fatrelu_kernelIS2_EES4_S6_fEETnPFT0_RKSA_fEXadL_ZNS_21packed_fatrelu_kernelIS3_EES4_S6_fEELb0ELb0EEEvPS4_PS5_if
	.globl	_ZN4vllm29act_and_mul_kernel_with_paramIN3c108BFloat16E15__hip_bfloat162TnPFT_RKS4_fEXadL_ZNS_14fatrelu_kernelIS2_EES4_S6_fEETnPFT0_RKSA_fEXadL_ZNS_21packed_fatrelu_kernelIS3_EES4_S6_fEELb0ELb0EEEvPS4_PS5_if
	.p2align	8
	.type	_ZN4vllm29act_and_mul_kernel_with_paramIN3c108BFloat16E15__hip_bfloat162TnPFT_RKS4_fEXadL_ZNS_14fatrelu_kernelIS2_EES4_S6_fEETnPFT0_RKSA_fEXadL_ZNS_21packed_fatrelu_kernelIS3_EES4_S6_fEELb0ELb0EEEvPS4_PS5_if,@function
_ZN4vllm29act_and_mul_kernel_with_paramIN3c108BFloat16E15__hip_bfloat162TnPFT_RKS4_fEXadL_ZNS_14fatrelu_kernelIS2_EES4_S6_fEETnPFT0_RKSA_fEXadL_ZNS_21packed_fatrelu_kernelIS3_EES4_S6_fEELb0ELb0EEEvPS4_PS5_if: ; @_ZN4vllm29act_and_mul_kernel_with_paramIN3c108BFloat16E15__hip_bfloat162TnPFT_RKS4_fEXadL_ZNS_14fatrelu_kernelIS2_EES4_S6_fEETnPFT0_RKSA_fEXadL_ZNS_21packed_fatrelu_kernelIS3_EES4_S6_fEELb0ELb0EEEvPS4_PS5_if
; %bb.0:
	s_load_dwordx2 s[12:13], s[4:5], 0x10
	s_waitcnt lgkmcnt(0)
	v_cmp_gt_i32_e32 vcc, s12, v0
	s_and_saveexec_b64 s[0:1], vcc
	s_cbranch_execz .LBB55_12
; %bb.1:
	s_load_dword s0, s[4:5], 0x24
	s_ashr_i32 s15, s12, 31
	s_mov_b32 s14, s12
	v_mov_b32_e32 v2, s15
	v_mov_b32_e32 v1, 0
	s_waitcnt lgkmcnt(0)
	s_and_b32 s24, s0, 0xffff
	v_add_co_u32_e32 v4, vcc, s24, v0
	v_addc_co_u32_e64 v5, s[0:1], 0, 0, vcc
	v_cmp_lt_i64_e32 vcc, s[14:15], v[4:5]
	v_cndmask_b32_e32 v6, v2, v5, vcc
	v_mov_b32_e32 v2, s12
	v_cndmask_b32_e32 v3, v2, v4, vcc
	v_cmp_gt_i64_e32 vcc, s[14:15], v[4:5]
	v_cndmask_b32_e64 v2, 0, 1, vcc
	v_add_co_u32_e32 v4, vcc, v4, v2
	v_addc_co_u32_e32 v5, vcc, 0, v5, vcc
	v_sub_co_u32_e32 v3, vcc, v3, v4
	v_subb_co_u32_e32 v5, vcc, v6, v5, vcc
	v_mov_b32_e32 v4, v1
	s_mov_b32 s25, 0
	v_cmp_ne_u64_e32 vcc, 0, v[4:5]
                                        ; implicit-def: $vgpr6_vgpr7
	s_and_saveexec_b64 s[0:1], vcc
	s_xor_b64 s[2:3], exec, s[0:1]
	s_cbranch_execz .LBB55_3
; %bb.2:
	v_cvt_f32_u32_e32 v4, s24
	v_mov_b32_e32 v6, 0x4f800000
	s_sub_u32 s0, 0, s24
	s_subb_u32 s1, 0, 0
	v_mac_f32_e32 v4, 0, v6
	v_rcp_f32_e32 v4, v4
	v_mul_f32_e32 v4, 0x5f7ffffc, v4
	v_mul_f32_e32 v6, 0x2f800000, v4
	v_trunc_f32_e32 v6, v6
	v_madmk_f32 v4, v6, 0xcf800000, v4
	v_cvt_u32_f32_e32 v6, v6
	v_cvt_u32_f32_e32 v4, v4
	v_mul_lo_u32 v7, s0, v6
	v_mul_hi_u32 v9, s0, v4
	v_mul_lo_u32 v8, s1, v4
	v_add_u32_e32 v7, v9, v7
	v_mul_lo_u32 v10, s0, v4
	v_add_u32_e32 v7, v7, v8
	v_mul_hi_u32 v9, v4, v10
	v_mul_lo_u32 v11, v4, v7
	v_mul_hi_u32 v8, v4, v7
	v_add_co_u32_e32 v9, vcc, v9, v11
	v_addc_co_u32_e32 v8, vcc, 0, v8, vcc
	v_mul_hi_u32 v12, v6, v10
	v_mul_lo_u32 v10, v6, v10
	v_add_co_u32_e32 v9, vcc, v9, v10
	v_mul_hi_u32 v11, v6, v7
	v_addc_co_u32_e32 v8, vcc, v8, v12, vcc
	v_addc_co_u32_e32 v9, vcc, 0, v11, vcc
	v_mul_lo_u32 v7, v6, v7
	v_add_co_u32_e32 v7, vcc, v8, v7
	v_addc_co_u32_e32 v8, vcc, 0, v9, vcc
	v_add_co_u32_e32 v4, vcc, v4, v7
	v_addc_co_u32_e32 v6, vcc, v6, v8, vcc
	v_mul_lo_u32 v7, s0, v6
	v_mul_hi_u32 v8, s0, v4
	v_add_u32_e32 v7, v8, v7
	v_mul_lo_u32 v8, s1, v4
	v_add_u32_e32 v7, v7, v8
	v_mul_lo_u32 v9, s0, v4
	v_mul_hi_u32 v10, v6, v9
	v_mul_lo_u32 v11, v6, v9
	v_mul_lo_u32 v13, v4, v7
	v_mul_hi_u32 v9, v4, v9
	v_mul_hi_u32 v12, v4, v7
	v_add_co_u32_e32 v9, vcc, v9, v13
	v_addc_co_u32_e32 v12, vcc, 0, v12, vcc
	v_add_co_u32_e32 v9, vcc, v9, v11
	v_mul_hi_u32 v8, v6, v7
	v_addc_co_u32_e32 v9, vcc, v12, v10, vcc
	v_addc_co_u32_e32 v8, vcc, 0, v8, vcc
	v_mul_lo_u32 v7, v6, v7
	v_add_co_u32_e32 v7, vcc, v9, v7
	v_addc_co_u32_e32 v8, vcc, 0, v8, vcc
	v_add_co_u32_e32 v4, vcc, v4, v7
	v_addc_co_u32_e32 v8, vcc, v6, v8, vcc
	v_mad_u64_u32 v[6:7], s[0:1], v3, v8, 0
	v_mul_hi_u32 v9, v3, v4
	v_add_co_u32_e32 v10, vcc, v9, v6
	v_addc_co_u32_e32 v11, vcc, 0, v7, vcc
	v_mad_u64_u32 v[6:7], s[0:1], v5, v8, 0
	v_mad_u64_u32 v[8:9], s[0:1], v5, v4, 0
	v_add_co_u32_e32 v4, vcc, v10, v8
	v_addc_co_u32_e32 v4, vcc, v11, v9, vcc
	v_addc_co_u32_e32 v7, vcc, 0, v7, vcc
	v_add_co_u32_e32 v10, vcc, v4, v6
	v_addc_co_u32_e32 v11, vcc, 0, v7, vcc
	v_mad_u64_u32 v[6:7], s[0:1], s24, v10, 0
	v_mov_b32_e32 v4, v7
	v_mad_u64_u32 v[8:9], s[0:1], s24, v11, v[4:5]
	v_sub_co_u32_e32 v3, vcc, v3, v6
	v_subb_co_u32_e32 v4, vcc, v5, v8, vcc
	v_subrev_co_u32_e32 v5, vcc, s24, v3
	v_subbrev_co_u32_e32 v6, vcc, 0, v4, vcc
	v_cmp_le_u32_e32 vcc, s24, v5
	v_cndmask_b32_e64 v5, 0, -1, vcc
	v_cmp_eq_u32_e32 vcc, 0, v6
	v_cndmask_b32_e32 v5, -1, v5, vcc
	v_add_co_u32_e32 v6, vcc, 2, v10
	v_addc_co_u32_e32 v7, vcc, 0, v11, vcc
	v_add_co_u32_e32 v8, vcc, 1, v10
	v_cmp_le_u32_e64 s[0:1], s24, v3
	v_addc_co_u32_e32 v9, vcc, 0, v11, vcc
	v_cndmask_b32_e64 v3, 0, -1, s[0:1]
	v_cmp_eq_u32_e64 s[0:1], 0, v4
	v_cmp_ne_u32_e32 vcc, 0, v5
	v_cndmask_b32_e64 v3, -1, v3, s[0:1]
	v_cndmask_b32_e32 v5, v9, v7, vcc
	v_cmp_ne_u32_e64 s[0:1], 0, v3
	v_cndmask_b32_e32 v3, v8, v6, vcc
	v_cndmask_b32_e64 v7, v11, v5, s[0:1]
	v_cndmask_b32_e64 v6, v10, v3, s[0:1]
                                        ; implicit-def: $vgpr3
.LBB55_3:
	s_or_saveexec_b64 s[0:1], s[2:3]
	s_load_dwordx4 s[8:11], s[4:5], 0x0
	s_xor_b64 exec, exec, s[0:1]
	s_cbranch_execz .LBB55_5
; %bb.4:
	v_cvt_f32_u32_e32 v4, s24
	s_sub_i32 s2, 0, s24
	v_mov_b32_e32 v7, 0
	v_rcp_iflag_f32_e32 v4, v4
	v_mul_f32_e32 v4, 0x4f7ffffe, v4
	v_cvt_u32_f32_e32 v4, v4
	v_mul_lo_u32 v5, s2, v4
	v_mul_hi_u32 v5, v4, v5
	v_add_u32_e32 v4, v4, v5
	v_mul_hi_u32 v4, v3, v4
	v_mul_lo_u32 v5, v4, s24
	v_sub_u32_e32 v3, v3, v5
	v_add_u32_e32 v6, 1, v4
	v_subrev_u32_e32 v5, s24, v3
	v_cmp_le_u32_e32 vcc, s24, v3
	v_cndmask_b32_e32 v3, v3, v5, vcc
	v_cndmask_b32_e32 v4, v4, v6, vcc
	v_add_u32_e32 v5, 1, v4
	v_cmp_le_u32_e32 vcc, s24, v3
	v_cndmask_b32_e32 v6, v4, v5, vcc
.LBB55_5:
	s_or_b64 exec, exec, s[0:1]
	v_add_co_u32_e32 v2, vcc, v6, v2
	v_addc_co_u32_e32 v3, vcc, 0, v7, vcc
	v_add_co_u32_e32 v2, vcc, 1, v2
	v_addc_co_u32_e32 v3, vcc, 0, v3, vcc
	s_mul_i32 s6, s6, s12
	s_mov_b32 s17, 0
	v_cmp_lt_u64_e32 vcc, 3, v[2:3]
	v_cmp_eq_u16_e64 s[0:1], s24, 1
	s_lshl_b32 s16, s6, 1
	s_mov_b32 s7, s17
	s_and_b64 s[2:3], vcc, s[0:1]
	s_mov_b64 s[0:1], -1
	s_and_saveexec_b64 s[18:19], s[2:3]
	s_cbranch_execz .LBB55_9
; %bb.6:
	s_lshl_b64 s[0:1], s[16:17], 1
	s_waitcnt lgkmcnt(0)
	s_add_u32 s0, s10, s0
	v_lshlrev_b32_e32 v6, 1, v0
	s_addc_u32 s1, s11, s1
	v_mov_b32_e32 v7, s1
	v_add_co_u32_e32 v8, vcc, s0, v6
	v_addc_co_u32_e32 v9, vcc, 0, v7, vcc
	s_lshl_b64 s[0:1], s[14:15], 1
	s_lshl_b32 s28, s24, 3
	v_mov_b32_e32 v7, s1
	v_add_co_u32_e32 v10, vcc, s0, v8
	s_lshl_b64 s[0:1], s[6:7], 1
	s_add_u32 s0, s8, s0
	v_addc_co_u32_e32 v11, vcc, v9, v7, vcc
	s_addc_u32 s1, s9, s1
	v_and_b32_e32 v4, -4, v2
	v_mov_b32_e32 v5, v3
	v_mov_b32_e32 v7, s1
	v_add_co_u32_e32 v12, vcc, s0, v6
	s_mov_b32 s12, s13
	s_mov_b32 s26, s13
	;; [unrolled: 1-line block ×3, first 2 shown]
	v_addc_co_u32_e32 v13, vcc, 0, v7, vcc
	s_mov_b64 s[20:21], 0
	s_movk_i32 s29, 0x7fff
	v_mov_b32_e32 v14, 0x7fc00000
	v_mov_b32_e32 v15, 0x7fc0
	s_mov_b32 s30, 0x5040100
	s_mov_b64 s[22:23], 0
	v_pk_mov_b32 v[6:7], v[4:5], v[4:5] op_sel:[0,1]
.LBB55_7:                               ; =>This Inner Loop Header: Depth=1
	v_mov_b32_e32 v24, s23
	v_add_co_u32_e64 v18, s[0:1], s22, v8
	v_add_co_u32_e32 v16, vcc, s22, v10
	v_addc_co_u32_e64 v19, s[0:1], v9, v24, s[0:1]
	v_addc_co_u32_e32 v17, vcc, v11, v24, vcc
	global_load_dwordx2 v[20:21], v[18:19], off
	global_load_dwordx2 v[22:23], v[16:17], off
	v_add_co_u32_e32 v6, vcc, -4, v6
	v_addc_co_u32_e32 v7, vcc, -1, v7, vcc
	v_add_co_u32_e32 v16, vcc, s22, v12
	s_add_u32 s22, s22, s28
	v_addc_co_u32_e32 v17, vcc, v13, v24, vcc
	s_addc_u32 s23, s23, 0
	v_cmp_eq_u64_e32 vcc, 0, v[6:7]
	s_or_b64 s[20:21], vcc, s[20:21]
	s_waitcnt vmcnt(1)
	v_lshlrev_b32_e32 v24, 16, v20
	v_and_b32_e32 v25, 0xffff0000, v20
	v_cmp_lt_f32_e32 vcc, s12, v24
	v_lshlrev_b32_e32 v26, 16, v21
	v_and_b32_e32 v27, 0xffff0000, v21
	s_waitcnt vmcnt(0)
	v_and_b32_e32 v21, 0xffff0000, v22
	v_lshlrev_b32_e32 v20, 16, v22
	v_cndmask_b32_e32 v22, 0, v24, vcc
	v_cmp_lt_f32_e32 vcc, s13, v25
	v_and_b32_e32 v19, 0xffff0000, v23
	v_lshlrev_b32_e32 v18, 16, v23
	v_cndmask_b32_e32 v23, 0, v25, vcc
	v_cmp_lt_f32_e32 vcc, s26, v26
	v_cndmask_b32_e32 v24, 0, v26, vcc
	v_cmp_lt_f32_e32 vcc, s27, v27
	v_cndmask_b32_e32 v25, 0, v27, vcc
	v_lshrrev_b32_e32 v26, 16, v25
	v_lshrrev_b32_e32 v27, 16, v24
	;; [unrolled: 1-line block ×4, first 2 shown]
	v_and_or_b32 v29, v29, 1, v22
	v_and_or_b32 v28, v28, 1, v23
	;; [unrolled: 1-line block ×4, first 2 shown]
	v_add_u32_e32 v26, 0x7fff, v26
	v_add_u32_e32 v27, 0x7fff, v27
	;; [unrolled: 1-line block ×4, first 2 shown]
	v_and_b32_e32 v29, 0xffff0000, v29
	v_and_b32_e32 v28, 0xffff0000, v28
	;; [unrolled: 1-line block ×4, first 2 shown]
	v_cmp_o_f32_e32 vcc, v24, v24
	v_cmp_o_f32_e64 s[0:1], v23, v23
	v_cmp_o_f32_e64 s[2:3], v22, v22
	;; [unrolled: 1-line block ×3, first 2 shown]
	v_cndmask_b32_e64 v23, v14, v26, s[4:5]
	v_cndmask_b32_e32 v22, v14, v27, vcc
	v_cndmask_b32_e64 v25, v14, v28, s[0:1]
	v_cndmask_b32_e64 v24, v14, v29, s[2:3]
	v_pk_mul_f32 v[20:21], v[24:25], v[20:21]
	v_pk_mul_f32 v[18:19], v[22:23], v[18:19]
	v_bfe_u32 v22, v20, 16, 1
	v_bfe_u32 v23, v21, 16, 1
	;; [unrolled: 1-line block ×4, first 2 shown]
	v_add3_u32 v25, v19, v25, s29
	v_add3_u32 v24, v18, v24, s29
	;; [unrolled: 1-line block ×4, first 2 shown]
	v_lshrrev_b32_e32 v22, 16, v22
	v_lshrrev_b32_e32 v23, 16, v23
	v_lshrrev_b32_e32 v24, 16, v24
	v_lshrrev_b32_e32 v25, 16, v25
	v_cmp_o_f32_e32 vcc, v21, v21
	v_cmp_o_f32_e64 s[0:1], v18, v18
	v_cmp_o_f32_e64 s[2:3], v19, v19
	;; [unrolled: 1-line block ×3, first 2 shown]
	v_cndmask_b32_e64 v18, v15, v22, s[4:5]
	v_cndmask_b32_e32 v19, v15, v23, vcc
	v_cndmask_b32_e64 v20, v15, v24, s[0:1]
	v_cndmask_b32_e64 v21, v15, v25, s[2:3]
	v_perm_b32 v18, v19, v18, s30
	v_perm_b32 v19, v21, v20, s30
	global_store_dwordx2 v[16:17], v[18:19], off
	s_andn2_b64 exec, exec, s[20:21]
	s_cbranch_execnz .LBB55_7
; %bb.8:
	s_or_b64 exec, exec, s[20:21]
	v_mad_u64_u32 v[0:1], s[0:1], v4, s24, v[0:1]
	v_mov_b32_e32 v6, v1
	v_mad_u64_u32 v[6:7], s[0:1], v5, s24, v[6:7]
	v_cmp_ne_u64_e32 vcc, v[2:3], v[4:5]
	v_mov_b32_e32 v1, v6
	s_orn2_b64 s[0:1], vcc, exec
.LBB55_9:
	s_or_b64 exec, exec, s[18:19]
	s_and_b64 exec, exec, s[0:1]
	s_cbranch_execz .LBB55_12
; %bb.10:
	s_lshl_b64 s[0:1], s[16:17], 1
	s_waitcnt lgkmcnt(0)
	s_add_u32 s2, s10, s0
	s_addc_u32 s10, s11, s1
	s_lshl_b64 s[0:1], s[14:15], 1
	s_add_u32 s3, s2, s0
	s_addc_u32 s11, s10, s1
	s_lshl_b64 s[0:1], s[6:7], 1
	s_add_u32 s4, s8, s0
	s_addc_u32 s7, s9, s1
	s_mov_b32 s8, 0
	v_lshlrev_b64 v[2:3], 1, v[0:1]
	s_lshl_b32 s5, s24, 1
	s_mov_b64 s[0:1], 0
	v_mov_b32_e32 v4, s10
	v_mov_b32_e32 v5, s11
	s_movk_i32 s6, 0x7fff
	v_mov_b32_e32 v6, 0x7fc00000
	v_mov_b32_e32 v7, 0x7fc0
	;; [unrolled: 1-line block ×5, first 2 shown]
.LBB55_11:                              ; =>This Inner Loop Header: Depth=1
	v_add_co_u32_e32 v12, vcc, s2, v2
	v_addc_co_u32_e32 v13, vcc, v4, v3, vcc
	v_add_co_u32_e32 v14, vcc, s3, v2
	v_addc_co_u32_e32 v15, vcc, v5, v3, vcc
	global_load_ushort v11, v[12:13], off
	global_load_ushort v16, v[14:15], off
	v_add_co_u32_e32 v12, vcc, s4, v2
	v_addc_co_u32_e32 v13, vcc, v8, v3, vcc
	v_add_co_u32_e32 v0, vcc, s24, v0
	v_addc_co_u32_e32 v1, vcc, v1, v9, vcc
	v_add_co_u32_e32 v2, vcc, s5, v2
	v_addc_co_u32_e32 v3, vcc, v3, v10, vcc
	v_cmp_le_i64_e32 vcc, s[14:15], v[0:1]
	s_or_b64 s[0:1], vcc, s[0:1]
	s_waitcnt vmcnt(1)
	v_lshlrev_b32_e32 v11, 16, v11
	v_cmp_lt_f32_e32 vcc, s13, v11
	v_cndmask_b32_e32 v11, 0, v11, vcc
	v_lshrrev_b32_e32 v15, 16, v11
	v_and_or_b32 v15, v15, 1, v11
	v_add_u32_e32 v15, 0x7fff, v15
	v_and_b32_e32 v15, 0xffff0000, v15
	v_cmp_o_f32_e32 vcc, v11, v11
	s_waitcnt vmcnt(0)
	v_lshlrev_b32_e32 v14, 16, v16
	v_cndmask_b32_e32 v11, v6, v15, vcc
	v_mul_f32_e32 v11, v11, v14
	v_bfe_u32 v14, v11, 16, 1
	v_add3_u32 v14, v11, v14, s6
	v_lshrrev_b32_e32 v14, 16, v14
	v_cmp_o_f32_e32 vcc, v11, v11
	v_cndmask_b32_e32 v11, v7, v14, vcc
	global_store_short v[12:13], v11, off
	s_andn2_b64 exec, exec, s[0:1]
	s_cbranch_execnz .LBB55_11
.LBB55_12:
	s_endpgm
	.section	.rodata,"a",@progbits
	.p2align	6, 0x0
	.amdhsa_kernel _ZN4vllm29act_and_mul_kernel_with_paramIN3c108BFloat16E15__hip_bfloat162TnPFT_RKS4_fEXadL_ZNS_14fatrelu_kernelIS2_EES4_S6_fEETnPFT0_RKSA_fEXadL_ZNS_21packed_fatrelu_kernelIS3_EES4_S6_fEELb0ELb0EEEvPS4_PS5_if
		.amdhsa_group_segment_fixed_size 0
		.amdhsa_private_segment_fixed_size 0
		.amdhsa_kernarg_size 280
		.amdhsa_user_sgpr_count 6
		.amdhsa_user_sgpr_private_segment_buffer 1
		.amdhsa_user_sgpr_dispatch_ptr 0
		.amdhsa_user_sgpr_queue_ptr 0
		.amdhsa_user_sgpr_kernarg_segment_ptr 1
		.amdhsa_user_sgpr_dispatch_id 0
		.amdhsa_user_sgpr_flat_scratch_init 0
		.amdhsa_user_sgpr_kernarg_preload_length 0
		.amdhsa_user_sgpr_kernarg_preload_offset 0
		.amdhsa_user_sgpr_private_segment_size 0
		.amdhsa_uses_dynamic_stack 0
		.amdhsa_system_sgpr_private_segment_wavefront_offset 0
		.amdhsa_system_sgpr_workgroup_id_x 1
		.amdhsa_system_sgpr_workgroup_id_y 0
		.amdhsa_system_sgpr_workgroup_id_z 0
		.amdhsa_system_sgpr_workgroup_info 0
		.amdhsa_system_vgpr_workitem_id 0
		.amdhsa_next_free_vgpr 30
		.amdhsa_next_free_sgpr 31
		.amdhsa_accum_offset 32
		.amdhsa_reserve_vcc 1
		.amdhsa_reserve_flat_scratch 0
		.amdhsa_float_round_mode_32 0
		.amdhsa_float_round_mode_16_64 0
		.amdhsa_float_denorm_mode_32 3
		.amdhsa_float_denorm_mode_16_64 3
		.amdhsa_dx10_clamp 1
		.amdhsa_ieee_mode 1
		.amdhsa_fp16_overflow 0
		.amdhsa_tg_split 0
		.amdhsa_exception_fp_ieee_invalid_op 0
		.amdhsa_exception_fp_denorm_src 0
		.amdhsa_exception_fp_ieee_div_zero 0
		.amdhsa_exception_fp_ieee_overflow 0
		.amdhsa_exception_fp_ieee_underflow 0
		.amdhsa_exception_fp_ieee_inexact 0
		.amdhsa_exception_int_div_zero 0
	.end_amdhsa_kernel
	.section	.text._ZN4vllm29act_and_mul_kernel_with_paramIN3c108BFloat16E15__hip_bfloat162TnPFT_RKS4_fEXadL_ZNS_14fatrelu_kernelIS2_EES4_S6_fEETnPFT0_RKSA_fEXadL_ZNS_21packed_fatrelu_kernelIS3_EES4_S6_fEELb0ELb0EEEvPS4_PS5_if,"axG",@progbits,_ZN4vllm29act_and_mul_kernel_with_paramIN3c108BFloat16E15__hip_bfloat162TnPFT_RKS4_fEXadL_ZNS_14fatrelu_kernelIS2_EES4_S6_fEETnPFT0_RKSA_fEXadL_ZNS_21packed_fatrelu_kernelIS3_EES4_S6_fEELb0ELb0EEEvPS4_PS5_if,comdat
.Lfunc_end55:
	.size	_ZN4vllm29act_and_mul_kernel_with_paramIN3c108BFloat16E15__hip_bfloat162TnPFT_RKS4_fEXadL_ZNS_14fatrelu_kernelIS2_EES4_S6_fEETnPFT0_RKSA_fEXadL_ZNS_21packed_fatrelu_kernelIS3_EES4_S6_fEELb0ELb0EEEvPS4_PS5_if, .Lfunc_end55-_ZN4vllm29act_and_mul_kernel_with_paramIN3c108BFloat16E15__hip_bfloat162TnPFT_RKS4_fEXadL_ZNS_14fatrelu_kernelIS2_EES4_S6_fEETnPFT0_RKSA_fEXadL_ZNS_21packed_fatrelu_kernelIS3_EES4_S6_fEELb0ELb0EEEvPS4_PS5_if
                                        ; -- End function
	.section	.AMDGPU.csdata,"",@progbits
; Kernel info:
; codeLenInByte = 1836
; NumSgprs: 35
; NumVgprs: 30
; NumAgprs: 0
; TotalNumVgprs: 30
; ScratchSize: 0
; MemoryBound: 0
; FloatMode: 240
; IeeeMode: 1
; LDSByteSize: 0 bytes/workgroup (compile time only)
; SGPRBlocks: 4
; VGPRBlocks: 3
; NumSGPRsForWavesPerEU: 35
; NumVGPRsForWavesPerEU: 30
; AccumOffset: 32
; Occupancy: 8
; WaveLimiterHint : 0
; COMPUTE_PGM_RSRC2:SCRATCH_EN: 0
; COMPUTE_PGM_RSRC2:USER_SGPR: 6
; COMPUTE_PGM_RSRC2:TRAP_HANDLER: 0
; COMPUTE_PGM_RSRC2:TGID_X_EN: 1
; COMPUTE_PGM_RSRC2:TGID_Y_EN: 0
; COMPUTE_PGM_RSRC2:TGID_Z_EN: 0
; COMPUTE_PGM_RSRC2:TIDIG_COMP_CNT: 0
; COMPUTE_PGM_RSRC3_GFX90A:ACCUM_OFFSET: 7
; COMPUTE_PGM_RSRC3_GFX90A:TG_SPLIT: 0
	.section	.text._ZN4vllm24swigluoai_and_mul_kernelIfTnPFT_RKS1_S3_ffEXadL_ZNS_17swigluoai_and_mulIfEES1_S3_S3_ffEEEEvPS1_PS2_iff,"axG",@progbits,_ZN4vllm24swigluoai_and_mul_kernelIfTnPFT_RKS1_S3_ffEXadL_ZNS_17swigluoai_and_mulIfEES1_S3_S3_ffEEEEvPS1_PS2_iff,comdat
	.protected	_ZN4vllm24swigluoai_and_mul_kernelIfTnPFT_RKS1_S3_ffEXadL_ZNS_17swigluoai_and_mulIfEES1_S3_S3_ffEEEEvPS1_PS2_iff ; -- Begin function _ZN4vllm24swigluoai_and_mul_kernelIfTnPFT_RKS1_S3_ffEXadL_ZNS_17swigluoai_and_mulIfEES1_S3_S3_ffEEEEvPS1_PS2_iff
	.globl	_ZN4vllm24swigluoai_and_mul_kernelIfTnPFT_RKS1_S3_ffEXadL_ZNS_17swigluoai_and_mulIfEES1_S3_S3_ffEEEEvPS1_PS2_iff
	.p2align	8
	.type	_ZN4vllm24swigluoai_and_mul_kernelIfTnPFT_RKS1_S3_ffEXadL_ZNS_17swigluoai_and_mulIfEES1_S3_S3_ffEEEEvPS1_PS2_iff,@function
_ZN4vllm24swigluoai_and_mul_kernelIfTnPFT_RKS1_S3_ffEXadL_ZNS_17swigluoai_and_mulIfEES1_S3_S3_ffEEEEvPS1_PS2_iff: ; @_ZN4vllm24swigluoai_and_mul_kernelIfTnPFT_RKS1_S3_ffEXadL_ZNS_17swigluoai_and_mulIfEES1_S3_S3_ffEEEEvPS1_PS2_iff
; %bb.0:
	s_load_dwordx8 s[8:15], s[4:5], 0x0
	s_mov_b32 s7, 0
	s_waitcnt lgkmcnt(0)
	s_ashr_i32 s17, s12, 31
	s_mul_hi_u32 s0, s12, s6
	s_mul_i32 s1, s17, s6
	s_add_i32 s1, s0, s1
	s_mul_i32 s0, s12, s6
	s_lshl_b64 s[18:19], s[0:1], 3
	s_add_u32 s29, s10, s18
	s_addc_u32 s36, s11, s19
	s_lshl_b64 s[20:21], s[0:1], 2
	s_add_u32 s31, s8, s20
	s_addc_u32 s33, s9, s21
	s_and_b32 s6, s29, 15
	s_cmp_lg_u64 s[6:7], 0
	s_cselect_b64 s[2:3], -1, 0
	s_mov_b32 s16, s12
	s_mov_b64 s[0:1], 0
	s_and_b64 vcc, exec, s[2:3]
	s_cbranch_vccz .LBB56_3
; %bb.1:
	s_andn2_b64 vcc, exec, s[2:3]
	s_cbranch_vccz .LBB56_4
.LBB56_2:
	s_andn2_b64 vcc, exec, s[0:1]
	s_cbranch_vccz .LBB56_19
	s_branch .LBB56_32
.LBB56_3:
	s_and_b32 s6, s31, 7
	s_cmp_lg_u64 s[6:7], 0
	s_cselect_b64 s[0:1], -1, 0
	s_cmp_lt_i32 s16, 2
	s_cselect_b64 s[2:3], -1, 0
	s_or_b64 s[2:3], s[2:3], s[0:1]
	s_mov_b64 s[0:1], -1
	s_andn2_b64 vcc, exec, s[2:3]
	s_cbranch_vccnz .LBB56_2
.LBB56_4:
	v_cmp_gt_i32_e32 vcc, s16, v0
	s_and_saveexec_b64 s[2:3], vcc
	s_cbranch_execz .LBB56_18
; %bb.5:
	s_load_dword s0, s[4:5], 0x2c
	v_mov_b32_e32 v2, s17
	v_mov_b32_e32 v1, 0
	s_mov_b32 s28, 0
	s_waitcnt lgkmcnt(0)
	s_and_b32 s15, s0, 0xffff
	v_add_co_u32_e32 v4, vcc, s15, v0
	v_addc_co_u32_e64 v5, s[0:1], 0, 0, vcc
	v_cmp_lt_i64_e32 vcc, s[16:17], v[4:5]
	v_cndmask_b32_e32 v6, v2, v5, vcc
	v_mov_b32_e32 v2, s16
	v_cndmask_b32_e32 v3, v2, v4, vcc
	v_cmp_gt_i64_e32 vcc, s[16:17], v[4:5]
	v_cndmask_b32_e64 v2, 0, 1, vcc
	v_add_co_u32_e32 v4, vcc, v4, v2
	v_addc_co_u32_e32 v5, vcc, 0, v5, vcc
	v_sub_co_u32_e32 v3, vcc, v3, v4
	v_subb_co_u32_e32 v5, vcc, v6, v5, vcc
	v_mov_b32_e32 v4, v1
	v_cmp_ne_u64_e32 vcc, 0, v[4:5]
                                        ; implicit-def: $vgpr6_vgpr7
	s_and_saveexec_b64 s[0:1], vcc
	s_xor_b64 s[6:7], exec, s[0:1]
	s_cbranch_execz .LBB56_7
; %bb.6:
	v_cvt_f32_u32_e32 v4, s15
	v_mov_b32_e32 v6, 0x4f800000
	s_sub_u32 s0, 0, s15
	s_subb_u32 s1, 0, 0
	v_mac_f32_e32 v4, 0, v6
	v_rcp_f32_e32 v4, v4
	v_mul_f32_e32 v4, 0x5f7ffffc, v4
	v_mul_f32_e32 v6, 0x2f800000, v4
	v_trunc_f32_e32 v6, v6
	v_madmk_f32 v4, v6, 0xcf800000, v4
	v_cvt_u32_f32_e32 v6, v6
	v_cvt_u32_f32_e32 v4, v4
	v_mul_lo_u32 v7, s0, v6
	v_mul_hi_u32 v9, s0, v4
	v_mul_lo_u32 v8, s1, v4
	v_add_u32_e32 v7, v9, v7
	v_mul_lo_u32 v10, s0, v4
	v_add_u32_e32 v7, v7, v8
	v_mul_hi_u32 v9, v4, v10
	v_mul_lo_u32 v11, v4, v7
	v_mul_hi_u32 v8, v4, v7
	v_add_co_u32_e32 v9, vcc, v9, v11
	v_addc_co_u32_e32 v8, vcc, 0, v8, vcc
	v_mul_hi_u32 v12, v6, v10
	v_mul_lo_u32 v10, v6, v10
	v_add_co_u32_e32 v9, vcc, v9, v10
	v_mul_hi_u32 v11, v6, v7
	v_addc_co_u32_e32 v8, vcc, v8, v12, vcc
	v_addc_co_u32_e32 v9, vcc, 0, v11, vcc
	v_mul_lo_u32 v7, v6, v7
	v_add_co_u32_e32 v7, vcc, v8, v7
	v_addc_co_u32_e32 v8, vcc, 0, v9, vcc
	v_add_co_u32_e32 v4, vcc, v4, v7
	v_addc_co_u32_e32 v6, vcc, v6, v8, vcc
	v_mul_lo_u32 v7, s0, v6
	v_mul_hi_u32 v8, s0, v4
	v_add_u32_e32 v7, v8, v7
	v_mul_lo_u32 v8, s1, v4
	v_add_u32_e32 v7, v7, v8
	v_mul_lo_u32 v9, s0, v4
	v_mul_hi_u32 v10, v6, v9
	v_mul_lo_u32 v11, v6, v9
	v_mul_lo_u32 v13, v4, v7
	v_mul_hi_u32 v9, v4, v9
	v_mul_hi_u32 v12, v4, v7
	v_add_co_u32_e32 v9, vcc, v9, v13
	v_addc_co_u32_e32 v12, vcc, 0, v12, vcc
	v_add_co_u32_e32 v9, vcc, v9, v11
	v_mul_hi_u32 v8, v6, v7
	v_addc_co_u32_e32 v9, vcc, v12, v10, vcc
	v_addc_co_u32_e32 v8, vcc, 0, v8, vcc
	v_mul_lo_u32 v7, v6, v7
	v_add_co_u32_e32 v7, vcc, v9, v7
	v_addc_co_u32_e32 v8, vcc, 0, v8, vcc
	v_add_co_u32_e32 v4, vcc, v4, v7
	v_addc_co_u32_e32 v8, vcc, v6, v8, vcc
	v_mad_u64_u32 v[6:7], s[0:1], v3, v8, 0
	v_mul_hi_u32 v9, v3, v4
	v_add_co_u32_e32 v10, vcc, v9, v6
	v_addc_co_u32_e32 v11, vcc, 0, v7, vcc
	v_mad_u64_u32 v[6:7], s[0:1], v5, v8, 0
	v_mad_u64_u32 v[8:9], s[0:1], v5, v4, 0
	v_add_co_u32_e32 v4, vcc, v10, v8
	v_addc_co_u32_e32 v4, vcc, v11, v9, vcc
	v_addc_co_u32_e32 v7, vcc, 0, v7, vcc
	v_add_co_u32_e32 v10, vcc, v4, v6
	v_addc_co_u32_e32 v11, vcc, 0, v7, vcc
	v_mad_u64_u32 v[6:7], s[0:1], s15, v10, 0
	v_mov_b32_e32 v4, v7
	v_mad_u64_u32 v[8:9], s[0:1], s15, v11, v[4:5]
	v_sub_co_u32_e32 v3, vcc, v3, v6
	v_subb_co_u32_e32 v4, vcc, v5, v8, vcc
	v_subrev_co_u32_e32 v5, vcc, s15, v3
	v_subbrev_co_u32_e32 v6, vcc, 0, v4, vcc
	v_cmp_le_u32_e32 vcc, s15, v5
	v_cndmask_b32_e64 v5, 0, -1, vcc
	v_cmp_eq_u32_e32 vcc, 0, v6
	v_cndmask_b32_e32 v5, -1, v5, vcc
	v_add_co_u32_e32 v6, vcc, 2, v10
	v_addc_co_u32_e32 v7, vcc, 0, v11, vcc
	v_add_co_u32_e32 v8, vcc, 1, v10
	v_cmp_le_u32_e64 s[0:1], s15, v3
	v_addc_co_u32_e32 v9, vcc, 0, v11, vcc
	v_cndmask_b32_e64 v3, 0, -1, s[0:1]
	v_cmp_eq_u32_e64 s[0:1], 0, v4
	v_cmp_ne_u32_e32 vcc, 0, v5
	v_cndmask_b32_e64 v3, -1, v3, s[0:1]
	v_cndmask_b32_e32 v5, v9, v7, vcc
	v_cmp_ne_u32_e64 s[0:1], 0, v3
	v_cndmask_b32_e32 v3, v8, v6, vcc
	v_cndmask_b32_e64 v7, v11, v5, s[0:1]
	v_cndmask_b32_e64 v6, v10, v3, s[0:1]
                                        ; implicit-def: $vgpr3
.LBB56_7:
	s_andn2_saveexec_b64 s[0:1], s[6:7]
	s_cbranch_execz .LBB56_9
; %bb.8:
	v_cvt_f32_u32_e32 v4, s15
	s_sub_i32 s6, 0, s15
	v_mov_b32_e32 v7, 0
	v_rcp_iflag_f32_e32 v4, v4
	v_mul_f32_e32 v4, 0x4f7ffffe, v4
	v_cvt_u32_f32_e32 v4, v4
	v_mul_lo_u32 v5, s6, v4
	v_mul_hi_u32 v5, v4, v5
	v_add_u32_e32 v4, v4, v5
	v_mul_hi_u32 v4, v3, v4
	v_mul_lo_u32 v5, v4, s15
	v_sub_u32_e32 v3, v3, v5
	v_add_u32_e32 v6, 1, v4
	v_subrev_u32_e32 v5, s15, v3
	v_cmp_le_u32_e32 vcc, s15, v3
	v_cndmask_b32_e32 v3, v3, v5, vcc
	v_cndmask_b32_e32 v4, v4, v6, vcc
	v_add_u32_e32 v5, 1, v4
	v_cmp_le_u32_e32 vcc, s15, v3
	v_cndmask_b32_e32 v6, v4, v5, vcc
.LBB56_9:
	s_or_b64 exec, exec, s[0:1]
	v_add_co_u32_e32 v2, vcc, v6, v2
	v_addc_co_u32_e32 v3, vcc, 0, v7, vcc
	v_add_co_u32_e32 v6, vcc, 1, v2
	v_addc_co_u32_e32 v7, vcc, 0, v3, vcc
	v_cmp_gt_u64_e32 vcc, 2, v[6:7]
	v_cmp_ne_u16_e64 s[0:1], s15, 1
	s_or_b64 s[22:23], vcc, s[0:1]
	s_mov_b64 s[6:7], 0
	v_mov_b32_e32 v9, v7
                                        ; kill: def $vgpr2_vgpr3 killed $sgpr0_sgpr1 killed $exec
                                        ; implicit-def: $sgpr0_sgpr1
	s_and_saveexec_b64 s[24:25], s[22:23]
	s_xor_b64 s[22:23], exec, s[24:25]
; %bb.10:
	s_mov_b64 s[6:7], exec
	s_lshl_b32 s0, s15, 3
	s_mov_b32 s1, 0
                                        ; implicit-def: $vgpr6_vgpr7
                                        ; implicit-def: $vgpr9
; %bb.11:
	s_or_saveexec_b64 s[22:23], s[22:23]
	v_pk_mov_b32 v[4:5], s[0:1], s[0:1] op_sel:[0,1]
	v_pk_mov_b32 v[2:3], v[0:1], v[0:1] op_sel:[0,1]
	s_xor_b64 exec, exec, s[22:23]
	s_cbranch_execz .LBB56_15
; %bb.12:
	v_mov_b32_e32 v3, s28
	v_add_co_u32_e32 v2, vcc, s15, v0
	v_addc_co_u32_e32 v3, vcc, 0, v3, vcc
	v_lshlrev_b32_e32 v4, 2, v0
	s_xor_b32 s1, s14, 0x80000000
	v_mov_b32_e32 v5, s33
	v_add_co_u32_e32 v10, vcc, s31, v4
	v_and_b32_e32 v8, -2, v6
	s_mov_b32 s0, s14
	s_mov_b32 s30, s1
	;; [unrolled: 1-line block ×3, first 2 shown]
	v_addc_co_u32_e32 v11, vcc, 0, v5, vcc
	v_pk_mov_b32 v[4:5], v[2:3], v[2:3] op_sel:[0,1]
	s_mov_b32 s12, s13
	s_lshl_b32 s24, s15, 3
	s_mov_b64 s[26:27], 0
	v_mov_b32_e32 v14, s36
	v_max_f32_e64 v15, s0, s0
	v_max_f32_e64 v16, s14, s14
	;; [unrolled: 1-line block ×4, first 2 shown]
	s_mov_b32 s30, 0x3fb8aa3b
	s_mov_b32 s34, 0xc2ce8ed0
	;; [unrolled: 1-line block ×3, first 2 shown]
	v_mov_b32_e32 v19, 0x7f800000
	v_mov_b32_e32 v20, s25
	v_pk_mov_b32 v[12:13], v[8:9], v[8:9] op_sel:[0,1]
	v_pk_mov_b32 v[2:3], v[0:1], v[0:1] op_sel:[0,1]
.LBB56_13:                              ; =>This Inner Loop Header: Depth=1
	v_lshlrev_b64 v[26:27], 3, v[2:3]
	v_add_co_u32_e32 v26, vcc, s29, v26
	v_lshlrev_b64 v[22:23], 1, v[2:3]
	v_lshlrev_b64 v[28:29], 3, v[4:5]
	v_addc_co_u32_e32 v27, vcc, v14, v27, vcc
	v_add_co_u32_e32 v28, vcc, s29, v28
	v_or_b32_e32 v22, 1, v22
	v_lshlrev_b64 v[24:25], 1, v[4:5]
	v_addc_co_u32_e32 v29, vcc, v14, v29, vcc
	v_lshlrev_b64 v[22:23], 2, v[22:23]
	v_or_b32_e32 v24, 1, v24
	v_add_co_u32_e32 v22, vcc, s29, v22
	global_load_dword v21, v[26:27], off
	global_load_dword v30, v[28:29], off
	v_lshlrev_b64 v[24:25], 2, v[24:25]
	v_addc_co_u32_e32 v23, vcc, v14, v23, vcc
	v_add_co_u32_e32 v24, vcc, s29, v24
	v_addc_co_u32_e32 v25, vcc, v14, v25, vcc
	global_load_dword v26, v[22:23], off
	global_load_dword v27, v[24:25], off
	v_add_co_u32_e32 v4, vcc, 2, v4
	v_addc_co_u32_e32 v5, vcc, 0, v5, vcc
	v_add_co_u32_e32 v2, vcc, 2, v2
	v_addc_co_u32_e32 v3, vcc, 0, v3, vcc
	v_add_co_u32_e32 v12, vcc, -2, v12
	v_addc_co_u32_e32 v13, vcc, -1, v13, vcc
	v_cmp_eq_u64_e32 vcc, 0, v[12:13]
	s_or_b64 s[26:27], vcc, s[26:27]
	s_waitcnt vmcnt(3)
	v_max_f32_e32 v21, v21, v21
	s_waitcnt vmcnt(2)
	v_max_f32_e32 v22, v30, v30
	v_min_f32_e32 v23, v22, v15
	v_min_f32_e32 v22, v21, v16
	v_pk_mul_f32 v[24:25], s[12:13], v[22:23] neg_lo:[0,1] neg_hi:[0,1]
	v_mul_f32_e32 v28, 0x3fb8aa3b, v25
	v_mul_f32_e32 v29, 0x3fb8aa3b, v24
	v_rndne_f32_e32 v30, v28
	s_waitcnt vmcnt(1)
	v_max_f32_e32 v21, v26, v26
	s_waitcnt vmcnt(0)
	v_max_f32_e32 v26, v27, v27
	v_min_f32_e32 v21, v21, v16
	v_min_f32_e32 v26, v26, v15
	v_max_f32_e32 v27, v26, v17
	v_max_f32_e32 v26, v21, v18
	v_fma_f32 v21, v25, s30, -v28
	v_fma_f32 v31, v24, s30, -v29
	v_rndne_f32_e32 v32, v29
	v_pk_add_f32 v[26:27], v[26:27], 1.0 op_sel_hi:[1,0]
	v_fmac_f32_e32 v21, 0x32a5705f, v25
	v_sub_f32_e32 v28, v28, v30
	v_fmac_f32_e32 v31, 0x32a5705f, v24
	v_sub_f32_e32 v29, v29, v32
	v_pk_mul_f32 v[22:23], v[22:23], v[26:27]
	v_add_f32_e32 v21, v28, v21
	v_add_f32_e32 v26, v29, v31
	v_cvt_i32_f32_e32 v30, v30
	v_cvt_i32_f32_e32 v32, v32
	v_exp_f32_e32 v21, v21
	v_exp_f32_e32 v26, v26
	v_cmp_ngt_f32_e32 vcc, s34, v24
	v_cmp_ngt_f32_e64 s[0:1], s34, v25
	v_ldexp_f32 v21, v21, v30
	v_ldexp_f32 v26, v26, v32
	v_cndmask_b32_e64 v21, 0, v21, s[0:1]
	v_cndmask_b32_e32 v26, 0, v26, vcc
	v_cmp_nlt_f32_e32 vcc, s35, v24
	v_cmp_nlt_f32_e64 s[0:1], s35, v25
	v_cndmask_b32_e64 v25, v19, v21, s[0:1]
	v_cndmask_b32_e32 v24, v19, v26, vcc
	v_pk_add_f32 v[24:25], v[24:25], 1.0 op_sel_hi:[1,0]
	v_div_scale_f32 v21, s[0:1], v25, v25, v23
	v_div_scale_f32 v27, s[0:1], v24, v24, v22
	v_rcp_f32_e32 v29, v21
	v_rcp_f32_e32 v30, v27
	v_div_scale_f32 v26, vcc, v23, v25, v23
	v_fma_f32 v31, -v21, v29, 1.0
	v_fma_f32 v32, -v27, v30, 1.0
	v_fmac_f32_e32 v29, v31, v29
	v_div_scale_f32 v28, s[0:1], v22, v24, v22
	v_fmac_f32_e32 v30, v32, v30
	v_mul_f32_e32 v31, v26, v29
	v_mul_f32_e32 v32, v28, v30
	v_fma_f32 v33, -v21, v31, v26
	v_fma_f32 v34, -v27, v32, v28
	v_fmac_f32_e32 v31, v33, v29
	v_fmac_f32_e32 v32, v34, v30
	v_fma_f32 v21, -v21, v31, v26
	v_fma_f32 v26, -v27, v32, v28
	v_div_fmas_f32 v21, v21, v29, v31
	s_mov_b64 vcc, s[0:1]
	v_div_fixup_f32 v23, v21, v25, v23
	v_div_fmas_f32 v21, v26, v30, v32
	v_div_fixup_f32 v22, v21, v24, v22
	global_store_dwordx2 v[10:11], v[22:23], off
	v_add_co_u32_e32 v10, vcc, s24, v10
	v_addc_co_u32_e32 v11, vcc, v11, v20, vcc
	s_andn2_b64 exec, exec, s[26:27]
	s_cbranch_execnz .LBB56_13
; %bb.14:
	s_or_b64 exec, exec, s[26:27]
	v_mad_u64_u32 v[2:3], s[0:1], v8, s15, v[0:1]
	v_mov_b32_e32 v4, v3
                                        ; kill: def $vgpr1 killed $sgpr0 killed $exec
	v_mad_u64_u32 v[4:5], s[0:1], v9, s15, v[4:5]
	v_cmp_ne_u64_e32 vcc, v[6:7], v[8:9]
	s_andn2_b64 s[0:1], s[6:7], exec
	s_and_b64 s[6:7], vcc, exec
	v_mov_b32_e32 v3, v4
	v_pk_mov_b32 v[4:5], s[24:25], s[24:25] op_sel:[0,1]
	s_or_b64 s[6:7], s[0:1], s[6:7]
.LBB56_15:
	s_or_b64 exec, exec, s[22:23]
	s_and_b64 exec, exec, s[6:7]
	s_cbranch_execz .LBB56_18
; %bb.16:
	s_add_u32 s0, s10, s18
	v_lshlrev_b64 v[6:7], 3, v[2:3]
	s_addc_u32 s1, s11, s19
	v_mov_b32_e32 v1, s1
	v_add_co_u32_e32 v6, vcc, s0, v6
	v_addc_co_u32_e32 v1, vcc, v1, v7, vcc
	v_add_co_u32_e32 v6, vcc, 4, v6
	s_add_u32 s0, s8, s20
	v_addc_co_u32_e32 v7, vcc, 0, v1, vcc
	v_lshlrev_b64 v[8:9], 2, v[2:3]
	s_addc_u32 s1, s9, s21
	v_mov_b32_e32 v1, s1
	v_add_co_u32_e32 v8, vcc, s0, v8
	s_mov_b32 s23, 0
	v_addc_co_u32_e32 v9, vcc, v1, v9, vcc
	s_lshl_b32 s6, s15, 2
	s_mov_b64 s[0:1], 0
	v_max_f32_e64 v1, s14, s14
	v_max_f32_e64 v10, -s14, -s14
	s_mov_b32 s7, 0x3fb8aa3b
	s_mov_b32 s12, 0xc2ce8ed0
	s_mov_b32 s22, 0x42b17218
	v_mov_b32_e32 v11, 0x7f800000
	v_mov_b32_e32 v12, s28
	;; [unrolled: 1-line block ×3, first 2 shown]
.LBB56_17:                              ; =>This Inner Loop Header: Depth=1
	global_load_dwordx2 v[14:15], v[6:7], off offset:-4
	v_add_co_u32_e32 v2, vcc, s15, v2
	v_addc_co_u32_e32 v3, vcc, v3, v12, vcc
	v_add_co_u32_e32 v6, vcc, v6, v4
	v_addc_co_u32_e32 v7, vcc, v7, v5, vcc
	v_cmp_le_i64_e32 vcc, s[16:17], v[2:3]
	s_or_b64 s[0:1], vcc, s[0:1]
	s_waitcnt vmcnt(0)
	v_max_f32_e32 v14, v14, v14
	v_max_f32_e32 v15, v15, v15
	v_min_f32_e32 v16, v14, v1
	v_min_f32_e32 v14, v15, v1
	v_mul_f32_e64 v15, -v16, s13
	v_mul_f32_e32 v17, 0x3fb8aa3b, v15
	v_fma_f32 v18, v15, s7, -v17
	v_rndne_f32_e32 v19, v17
	v_fmac_f32_e32 v18, 0x32a5705f, v15
	v_sub_f32_e32 v17, v17, v19
	v_add_f32_e32 v17, v17, v18
	v_cvt_i32_f32_e32 v19, v19
	v_exp_f32_e32 v17, v17
	v_cmp_ngt_f32_e32 vcc, s12, v15
	v_max_f32_e32 v14, v14, v10
	v_ldexp_f32 v17, v17, v19
	v_cndmask_b32_e32 v17, 0, v17, vcc
	v_cmp_nlt_f32_e32 vcc, s22, v15
	v_cndmask_b32_e32 v15, v11, v17, vcc
	v_pk_add_f32 v[14:15], v[14:15], 1.0 op_sel_hi:[1,0]
	v_mul_f32_e32 v14, v16, v14
	v_div_scale_f32 v16, s[24:25], v15, v15, v14
	v_rcp_f32_e32 v18, v16
	v_div_scale_f32 v17, vcc, v14, v15, v14
	v_fma_f32 v19, -v16, v18, 1.0
	v_fmac_f32_e32 v18, v19, v18
	v_mul_f32_e32 v19, v17, v18
	v_fma_f32 v20, -v16, v19, v17
	v_fmac_f32_e32 v19, v20, v18
	v_fma_f32 v16, -v16, v19, v17
	v_div_fmas_f32 v16, v16, v18, v19
	v_div_fixup_f32 v14, v16, v15, v14
	global_store_dword v[8:9], v14, off
	v_add_co_u32_e32 v8, vcc, s6, v8
	v_addc_co_u32_e32 v9, vcc, v9, v13, vcc
	s_andn2_b64 exec, exec, s[0:1]
	s_cbranch_execnz .LBB56_17
.LBB56_18:
	s_or_b64 exec, exec, s[2:3]
	s_cbranch_execnz .LBB56_32
.LBB56_19:
	s_lshr_b32 s17, s16, 1
	v_cmp_gt_u32_e32 vcc, s17, v0
	s_and_saveexec_b64 s[22:23], vcc
	s_cbranch_execz .LBB56_29
; %bb.20:
	s_load_dword s0, s[4:5], 0x2c
	s_mov_b64 s[24:25], 0
	s_waitcnt lgkmcnt(0)
	s_and_b32 s37, s0, 0xffff
	v_cvt_f32_u32_e32 v1, s37
	v_add_u32_e32 v2, s37, v0
	v_mov_b32_e32 v3, s37
	v_cmp_gt_u32_e32 vcc, s17, v2
	v_rcp_iflag_f32_e32 v1, v1
	s_cmp_lg_u32 s37, 1
	v_max_u32_e32 v4, s17, v2
	v_addc_co_u32_e64 v2, s[0:1], v0, v3, vcc
	v_mul_f32_e32 v1, 0x4f7ffffe, v1
	v_cvt_u32_f32_e32 v1, v1
	s_cselect_b64 s[2:3], -1, 0
	s_sub_i32 s0, 0, s37
	v_sub_u32_e32 v2, v4, v2
	v_mul_lo_u32 v3, s0, v1
	v_mul_hi_u32 v3, v1, v3
	v_add_u32_e32 v1, v1, v3
	v_mul_hi_u32 v1, v2, v1
	v_mul_lo_u32 v3, v1, s37
	v_sub_u32_e32 v2, v2, v3
	v_add_u32_e32 v4, 1, v1
	v_cmp_le_u32_e64 s[0:1], s37, v2
	v_subrev_u32_e32 v3, s37, v2
	v_cndmask_b32_e64 v1, v1, v4, s[0:1]
	v_cndmask_b32_e64 v2, v2, v3, s[0:1]
	v_add_u32_e32 v3, 1, v1
	v_cmp_le_u32_e64 s[0:1], s37, v2
	v_cndmask_b32_e64 v1, v1, v3, s[0:1]
	v_addc_co_u32_e32 v14, vcc, 1, v1, vcc
	v_cmp_gt_u32_e32 vcc, 2, v14
	s_or_b64 s[6:7], vcc, s[2:3]
                                        ; kill: def $vgpr1 killed $sgpr0 killed $exec
                                        ; implicit-def: $vgpr2
                                        ; implicit-def: $sgpr2_sgpr3
                                        ; implicit-def: $sgpr0_sgpr1
	s_and_saveexec_b64 s[26:27], s[6:7]
	s_xor_b64 s[6:7], exec, s[26:27]
; %bb.21:
	s_mov_b64 s[24:25], exec
	s_xor_b32 s2, s14, 0x80000000
	s_mov_b32 s0, s13
	v_mov_b32_e32 v2, v0
                                        ; implicit-def: $vgpr14
; %bb.22:
	s_or_saveexec_b64 s[26:27], s[6:7]
	v_pk_mov_b32 v[12:13], s[14:15], s[14:15] op_sel:[0,1]
	v_pk_mov_b32 v[10:11], s[2:3], s[2:3] op_sel:[0,1]
	;; [unrolled: 1-line block ×3, first 2 shown]
	s_xor_b64 exec, exec, s[26:27]
	s_cbranch_execz .LBB56_26
; %bb.23:
	s_xor_b32 s28, s14, 0x80000000
	v_and_b32_e32 v10, -2, v14
	v_add_u32_e32 v1, 1, v0
	s_mov_b32 s0, s14
	s_mov_b32 s1, s28
	;; [unrolled: 1-line block ×4, first 2 shown]
	s_mov_b64 s[34:35], 0
	v_mov_b32_e32 v11, s36
	v_max_f32_e64 v12, s0, s0
	v_max_f32_e64 v13, s14, s14
	;; [unrolled: 1-line block ×4, first 2 shown]
	s_mov_b32 s15, 0x3fb8aa3b
	s_mov_b32 s38, 0xc2ce8ed0
	;; [unrolled: 1-line block ×3, first 2 shown]
	v_mov_b32_e32 v17, 0x7f800000
	v_mov_b32_e32 v18, s33
	;; [unrolled: 1-line block ×4, first 2 shown]
	v_pk_mov_b32 v[4:5], v[0:1], v[0:1] op_sel:[0,1]
.LBB56_24:                              ; =>This Inner Loop Header: Depth=1
	v_mov_b32_e32 v2, v4
	v_lshlrev_b64 v[8:9], 4, v[2:3]
	v_mov_b32_e32 v6, v5
	v_mov_b32_e32 v7, v3
	v_add_co_u32_e64 v28, s[0:1], s29, v8
	v_lshlrev_b64 v[20:21], 4, v[6:7]
	v_addc_co_u32_e64 v29, s[0:1], v11, v9, s[0:1]
	v_add_co_u32_e64 v30, s[0:1], s29, v20
	v_lshlrev_b64 v[22:23], 3, v[2:3]
	v_addc_co_u32_e64 v31, s[0:1], v11, v21, s[0:1]
	v_lshlrev_b64 v[24:25], 3, v[6:7]
	v_add_co_u32_e64 v6, s[0:1], s31, v22
	v_addc_co_u32_e64 v7, s[0:1], v18, v23, s[0:1]
	v_add_co_u32_e64 v8, s[0:1], s31, v24
	v_addc_co_u32_e64 v9, s[0:1], v18, v25, s[0:1]
	global_load_dwordx4 v[20:23], v[30:31], off
	global_load_dwordx4 v[24:27], v[28:29], off
	v_add_u32_e32 v19, -2, v19
	v_cmp_eq_u32_e32 vcc, 0, v19
	s_or_b64 s[34:35], vcc, s[34:35]
	v_add_u32_e32 v5, 2, v5
	v_add_u32_e32 v4, 2, v4
	s_waitcnt vmcnt(1)
	v_max_f32_e32 v1, v20, v20
	s_waitcnt vmcnt(0)
	v_max_f32_e32 v2, v24, v24
	v_max_f32_e32 v24, v25, v25
	;; [unrolled: 1-line block ×7, first 2 shown]
	v_min_f32_e32 v21, v1, v12
	v_min_f32_e32 v20, v2, v13
	;; [unrolled: 1-line block ×8, first 2 shown]
	v_max_f32_e32 v25, v2, v15
	v_max_f32_e32 v24, v1, v16
	v_pk_mul_f32 v[26:27], s[12:13], v[20:21] neg_lo:[0,1] neg_hi:[0,1]
	v_max_f32_e32 v29, v28, v15
	v_max_f32_e32 v28, v30, v16
	v_pk_mul_f32 v[30:31], s[12:13], v[22:23] neg_lo:[0,1] neg_hi:[0,1]
	v_pk_add_f32 v[24:25], v[24:25], 1.0 op_sel_hi:[1,0]
	v_mul_f32_e32 v1, 0x3fb8aa3b, v27
	v_mul_f32_e32 v2, 0x3fb8aa3b, v26
	v_pk_add_f32 v[28:29], v[28:29], 1.0 op_sel_hi:[1,0]
	v_mul_f32_e32 v32, 0x3fb8aa3b, v31
	v_mul_f32_e32 v33, 0x3fb8aa3b, v30
	v_pk_mul_f32 v[20:21], v[20:21], v[24:25]
	v_fma_f32 v24, v27, s15, -v1
	v_rndne_f32_e32 v25, v1
	v_fma_f32 v34, v26, s15, -v2
	v_rndne_f32_e32 v35, v2
	v_pk_mul_f32 v[22:23], v[22:23], v[28:29]
	v_fma_f32 v28, v31, s15, -v32
	v_rndne_f32_e32 v29, v32
	v_fma_f32 v36, v30, s15, -v33
	v_rndne_f32_e32 v37, v33
	v_fmac_f32_e32 v24, 0x32a5705f, v27
	v_sub_f32_e32 v1, v1, v25
	v_fmac_f32_e32 v34, 0x32a5705f, v26
	v_sub_f32_e32 v2, v2, v35
	;; [unrolled: 2-line block ×4, first 2 shown]
	v_add_f32_e32 v1, v1, v24
	v_add_f32_e32 v2, v2, v34
	v_cvt_i32_f32_e32 v25, v25
	v_cvt_i32_f32_e32 v35, v35
	v_add_f32_e32 v24, v32, v28
	v_add_f32_e32 v28, v33, v36
	v_exp_f32_e32 v1, v1
	v_exp_f32_e32 v2, v2
	v_cvt_i32_f32_e32 v29, v29
	v_cvt_i32_f32_e32 v37, v37
	v_exp_f32_e32 v24, v24
	v_exp_f32_e32 v28, v28
	v_ldexp_f32 v1, v1, v25
	v_ldexp_f32 v2, v2, v35
	v_cmp_ngt_f32_e32 vcc, s38, v26
	v_cmp_ngt_f32_e64 s[6:7], s38, v27
	v_ldexp_f32 v24, v24, v29
	v_cmp_ngt_f32_e64 s[0:1], s38, v31
	v_ldexp_f32 v25, v28, v37
	v_cmp_ngt_f32_e64 s[2:3], s38, v30
	v_cndmask_b32_e64 v1, 0, v1, s[6:7]
	v_cndmask_b32_e32 v2, 0, v2, vcc
	v_cmp_nlt_f32_e32 vcc, s39, v26
	v_cmp_nlt_f32_e64 s[6:7], s39, v27
	v_cndmask_b32_e64 v26, 0, v24, s[0:1]
	v_cndmask_b32_e64 v28, 0, v25, s[2:3]
	;; [unrolled: 1-line block ×3, first 2 shown]
	v_cndmask_b32_e32 v24, v17, v2, vcc
	v_cmp_nlt_f32_e64 s[0:1], s39, v31
	v_cmp_nlt_f32_e64 s[2:3], s39, v30
	v_pk_add_f32 v[24:25], v[24:25], 1.0 op_sel_hi:[1,0]
	v_cndmask_b32_e64 v27, v17, v26, s[0:1]
	v_cndmask_b32_e64 v26, v17, v28, s[2:3]
	v_div_scale_f32 v1, s[0:1], v25, v25, v21
	v_pk_add_f32 v[26:27], v[26:27], 1.0 op_sel_hi:[1,0]
	v_div_scale_f32 v28, s[0:1], v24, v24, v20
	v_rcp_f32_e32 v34, v1
	v_div_scale_f32 v30, s[2:3], v27, v27, v23
	v_rcp_f32_e32 v35, v28
	;; [unrolled: 2-line block ×3, first 2 shown]
	v_rcp_f32_e32 v37, v32
	v_fma_f32 v38, -v1, v34, 1.0
	v_div_scale_f32 v2, vcc, v21, v25, v21
	v_fma_f32 v39, -v28, v35, 1.0
	v_fmac_f32_e32 v34, v38, v34
	v_div_scale_f32 v29, s[0:1], v20, v24, v20
	v_fma_f32 v40, -v30, v36, 1.0
	v_fmac_f32_e32 v35, v39, v35
	v_mul_f32_e32 v38, v2, v34
	v_div_scale_f32 v31, s[2:3], v23, v27, v23
	v_fma_f32 v41, -v32, v37, 1.0
	v_fmac_f32_e32 v36, v40, v36
	v_mul_f32_e32 v39, v29, v35
	v_fma_f32 v42, -v1, v38, v2
	v_div_scale_f32 v33, s[6:7], v22, v26, v22
	v_fmac_f32_e32 v37, v41, v37
	v_mul_f32_e32 v40, v31, v36
	v_fma_f32 v43, -v28, v39, v29
	v_fmac_f32_e32 v38, v42, v34
	v_mul_f32_e32 v41, v33, v37
	v_fma_f32 v44, -v30, v40, v31
	v_fmac_f32_e32 v39, v43, v35
	v_fma_f32 v1, -v1, v38, v2
	v_fma_f32 v45, -v32, v41, v33
	v_fmac_f32_e32 v40, v44, v36
	v_fma_f32 v2, -v28, v39, v29
	v_div_fmas_f32 v1, v1, v34, v38
	s_mov_b64 vcc, s[0:1]
	v_fmac_f32_e32 v41, v45, v37
	v_fma_f32 v29, -v30, v40, v31
	v_div_fixup_f32 v28, v1, v25, v21
	v_div_fmas_f32 v1, v2, v35, v39
	s_mov_b64 vcc, s[2:3]
	v_fma_f32 v30, -v32, v41, v33
	v_div_fixup_f32 v20, v1, v24, v20
	v_div_fmas_f32 v1, v29, v36, v40
	s_mov_b64 vcc, s[6:7]
	v_div_fixup_f32 v29, v1, v27, v23
	v_div_fmas_f32 v1, v30, v37, v41
	v_div_fixup_f32 v21, v1, v26, v22
	global_store_dwordx2 v[6:7], v[20:21], off
	global_store_dwordx2 v[8:9], v[28:29], off
	s_andn2_b64 exec, exec, s[34:35]
	s_cbranch_execnz .LBB56_24
; %bb.25:
	s_or_b64 exec, exec, s[34:35]
	v_cmp_ne_u32_e32 vcc, v14, v10
	s_andn2_b64 s[0:1], s[24:25], exec
	s_and_b64 s[2:3], vcc, exec
	v_add_u32_e32 v2, v0, v10
	v_pk_mov_b32 v[12:13], s[14:15], s[14:15] op_sel:[0,1]
	v_pk_mov_b32 v[10:11], s[28:29], s[28:29] op_sel:[0,1]
	;; [unrolled: 1-line block ×3, first 2 shown]
	s_or_b64 s[24:25], s[0:1], s[2:3]
.LBB56_26:
	s_or_b64 exec, exec, s[26:27]
	s_and_b64 exec, exec, s[24:25]
	s_cbranch_execz .LBB56_29
; %bb.27:
	s_xor_b32 s0, s14, 0x80000000
	v_mov_b32_e32 v3, 0
	s_add_u32 s1, s8, s20
	v_lshlrev_b64 v[6:7], 3, v[2:3]
	s_addc_u32 s2, s9, s21
	s_lshl_b32 s6, s37, 3
	v_mov_b32_e32 v8, s2
	v_add_co_u32_e32 v6, vcc, s1, v6
	s_add_u32 s1, s10, s18
	v_addc_co_u32_e32 v7, vcc, v8, v7, vcc
	v_lshlrev_b64 v[8:9], 4, v[2:3]
	s_addc_u32 s2, s11, s19
	v_mov_b32_e32 v3, s2
	v_add_co_u32_e32 v8, vcc, s1, v8
	v_addc_co_u32_e32 v3, vcc, v3, v9, vcc
	v_mov_b32_e32 v1, s14
	v_mov_b32_e32 v11, s0
	s_mov_b32 s0, 0
	v_add_co_u32_e32 v8, vcc, 8, v8
	v_mov_b32_e32 v5, s13
	v_addc_co_u32_e32 v9, vcc, 0, v3, vcc
	s_lshl_b32 s7, s37, 4
	s_mov_b64 s[2:3], 0
	v_max_f32_e32 v1, v1, v1
	v_max_f32_e32 v3, v12, v12
	;; [unrolled: 1-line block ×4, first 2 shown]
	s_mov_b32 s8, 0x3fb8aa3b
	s_mov_b32 s9, 0xc2ce8ed0
	;; [unrolled: 1-line block ×3, first 2 shown]
	v_mov_b32_e32 v12, 0x7f800000
	v_mov_b32_e32 v13, s0
	;; [unrolled: 1-line block ×3, first 2 shown]
.LBB56_28:                              ; =>This Inner Loop Header: Depth=1
	global_load_dwordx4 v[16:19], v[8:9], off offset:-8
	v_add_co_u32_e32 v8, vcc, s7, v8
	v_add_u32_e32 v2, s37, v2
	v_addc_co_u32_e32 v9, vcc, v9, v14, vcc
	v_cmp_le_u32_e32 vcc, s17, v2
	s_or_b64 s[2:3], vcc, s[2:3]
	s_waitcnt vmcnt(0)
	v_max_f32_e32 v15, v18, v18
	v_max_f32_e32 v16, v16, v16
	;; [unrolled: 1-line block ×4, first 2 shown]
	v_min_f32_e32 v17, v15, v1
	v_min_f32_e32 v16, v16, v3
	v_min_f32_e32 v15, v18, v3
	v_min_f32_e32 v18, v19, v1
	v_max_f32_e32 v19, v18, v11
	v_max_f32_e32 v18, v15, v10
	v_pk_mul_f32 v[20:21], v[4:5], v[16:17] neg_lo:[0,1] neg_hi:[0,1]
	v_pk_add_f32 v[18:19], v[18:19], 1.0 op_sel_hi:[1,0]
	v_mul_f32_e32 v15, 0x3fb8aa3b, v21
	v_mul_f32_e32 v22, 0x3fb8aa3b, v20
	v_pk_mul_f32 v[16:17], v[16:17], v[18:19]
	v_fma_f32 v18, v21, s8, -v15
	v_rndne_f32_e32 v19, v15
	v_fma_f32 v23, v20, s8, -v22
	v_rndne_f32_e32 v24, v22
	v_fmac_f32_e32 v18, 0x32a5705f, v21
	v_sub_f32_e32 v15, v15, v19
	v_fmac_f32_e32 v23, 0x32a5705f, v20
	v_sub_f32_e32 v22, v22, v24
	v_add_f32_e32 v15, v15, v18
	v_add_f32_e32 v18, v22, v23
	v_cvt_i32_f32_e32 v19, v19
	v_cvt_i32_f32_e32 v24, v24
	v_exp_f32_e32 v15, v15
	v_exp_f32_e32 v18, v18
	v_cmp_ngt_f32_e32 vcc, s9, v20
	v_cmp_ngt_f32_e64 s[0:1], s9, v21
	v_ldexp_f32 v15, v15, v19
	v_ldexp_f32 v18, v18, v24
	v_cndmask_b32_e64 v15, 0, v15, s[0:1]
	v_cndmask_b32_e32 v18, 0, v18, vcc
	v_cmp_nlt_f32_e32 vcc, s10, v20
	v_cmp_nlt_f32_e64 s[0:1], s10, v21
	v_cndmask_b32_e64 v19, v12, v15, s[0:1]
	v_cndmask_b32_e32 v18, v12, v18, vcc
	v_pk_add_f32 v[18:19], v[18:19], 1.0 op_sel_hi:[1,0]
	v_div_scale_f32 v15, s[0:1], v19, v19, v17
	v_div_scale_f32 v21, s[0:1], v18, v18, v16
	v_rcp_f32_e32 v23, v15
	v_rcp_f32_e32 v24, v21
	v_div_scale_f32 v20, vcc, v17, v19, v17
	v_fma_f32 v25, -v15, v23, 1.0
	v_fma_f32 v26, -v21, v24, 1.0
	v_fmac_f32_e32 v23, v25, v23
	v_div_scale_f32 v22, s[0:1], v16, v18, v16
	v_fmac_f32_e32 v24, v26, v24
	v_mul_f32_e32 v25, v20, v23
	v_mul_f32_e32 v26, v22, v24
	v_fma_f32 v27, -v15, v25, v20
	v_fma_f32 v28, -v21, v26, v22
	v_fmac_f32_e32 v25, v27, v23
	v_fmac_f32_e32 v26, v28, v24
	v_fma_f32 v15, -v15, v25, v20
	v_fma_f32 v20, -v21, v26, v22
	v_div_fmas_f32 v15, v15, v23, v25
	s_mov_b64 vcc, s[0:1]
	v_div_fixup_f32 v17, v15, v19, v17
	v_div_fmas_f32 v15, v20, v24, v26
	v_div_fixup_f32 v16, v15, v18, v16
	global_store_dwordx2 v[6:7], v[16:17], off
	v_add_co_u32_e32 v6, vcc, s6, v6
	v_addc_co_u32_e32 v7, vcc, v7, v13, vcc
	s_andn2_b64 exec, exec, s[2:3]
	s_cbranch_execnz .LBB56_28
.LBB56_29:
	s_or_b64 exec, exec, s[22:23]
	s_and_b32 s0, s16, 0x7ffffffe
	v_add_u32_e32 v2, s0, v0
	v_cmp_gt_i32_e32 vcc, s16, v2
	s_and_saveexec_b64 s[0:1], vcc
	s_cbranch_execz .LBB56_32
; %bb.30:
	s_load_dword s0, s[4:5], 0x2c
	s_lshl_b32 s1, s16, 1
	s_and_b32 s1, s1, -4
	s_mov_b64 s[2:3], 0
	v_lshl_add_u32 v0, v0, 1, s1
	s_waitcnt lgkmcnt(0)
	s_and_b32 s4, s0, 0xffff
	s_lshl_b32 s5, s4, 1
	v_mov_b32_e32 v4, s36
	v_max_f32_e64 v5, s14, s14
	v_max_f32_e64 v6, -s14, -s14
	s_mov_b32 s6, 0x3fb8aa3b
	s_mov_b32 s7, 0xc2ce8ed0
	;; [unrolled: 1-line block ×3, first 2 shown]
	v_mov_b32_e32 v7, 0x7f800000
	v_mov_b32_e32 v8, s33
.LBB56_31:                              ; =>This Inner Loop Header: Depth=1
	v_ashrrev_i32_e32 v1, 31, v0
	v_lshlrev_b64 v[10:11], 2, v[0:1]
	v_add_co_u32_e32 v10, vcc, s29, v10
	v_addc_co_u32_e32 v11, vcc, v4, v11, vcc
	global_load_dwordx2 v[10:11], v[10:11], off
	v_ashrrev_i32_e32 v3, 31, v2
	v_lshlrev_b64 v[12:13], 2, v[2:3]
	v_add_co_u32_e32 v12, vcc, s31, v12
	v_add_u32_e32 v2, s4, v2
	v_addc_co_u32_e32 v13, vcc, v8, v13, vcc
	v_cmp_le_i32_e32 vcc, s16, v2
	s_or_b64 s[2:3], vcc, s[2:3]
	v_add_u32_e32 v0, s5, v0
	s_waitcnt vmcnt(0)
	v_max_f32_e32 v1, v10, v10
	v_min_f32_e32 v1, v1, v5
	v_mul_f32_e64 v3, -v1, s13
	v_mul_f32_e32 v9, 0x3fb8aa3b, v3
	v_fma_f32 v10, v3, s6, -v9
	v_rndne_f32_e32 v14, v9
	v_fmac_f32_e32 v10, 0x32a5705f, v3
	v_sub_f32_e32 v9, v9, v14
	v_add_f32_e32 v9, v9, v10
	v_cvt_i32_f32_e32 v14, v14
	v_exp_f32_e32 v9, v9
	v_max_f32_e32 v10, v11, v11
	v_cmp_ngt_f32_e64 s[0:1], s7, v3
	v_min_f32_e32 v10, v10, v5
	v_ldexp_f32 v9, v9, v14
	v_cndmask_b32_e64 v9, 0, v9, s[0:1]
	v_cmp_nlt_f32_e64 s[0:1], s8, v3
	v_max_f32_e32 v10, v10, v6
	v_cndmask_b32_e64 v11, v7, v9, s[0:1]
	v_pk_add_f32 v[10:11], v[10:11], 1.0 op_sel_hi:[1,0]
	v_mul_f32_e32 v1, v1, v10
	v_div_scale_f32 v3, s[0:1], v11, v11, v1
	v_rcp_f32_e32 v9, v3
	v_div_scale_f32 v10, vcc, v1, v11, v1
	v_fma_f32 v14, -v3, v9, 1.0
	v_fmac_f32_e32 v9, v14, v9
	v_mul_f32_e32 v14, v10, v9
	v_fma_f32 v15, -v3, v14, v10
	v_fmac_f32_e32 v14, v15, v9
	v_fma_f32 v3, -v3, v14, v10
	v_div_fmas_f32 v3, v3, v9, v14
	v_div_fixup_f32 v1, v3, v11, v1
	global_store_dword v[12:13], v1, off
	s_andn2_b64 exec, exec, s[2:3]
	s_cbranch_execnz .LBB56_31
.LBB56_32:
	s_endpgm
	.section	.rodata,"a",@progbits
	.p2align	6, 0x0
	.amdhsa_kernel _ZN4vllm24swigluoai_and_mul_kernelIfTnPFT_RKS1_S3_ffEXadL_ZNS_17swigluoai_and_mulIfEES1_S3_S3_ffEEEEvPS1_PS2_iff
		.amdhsa_group_segment_fixed_size 0
		.amdhsa_private_segment_fixed_size 0
		.amdhsa_kernarg_size 288
		.amdhsa_user_sgpr_count 6
		.amdhsa_user_sgpr_private_segment_buffer 1
		.amdhsa_user_sgpr_dispatch_ptr 0
		.amdhsa_user_sgpr_queue_ptr 0
		.amdhsa_user_sgpr_kernarg_segment_ptr 1
		.amdhsa_user_sgpr_dispatch_id 0
		.amdhsa_user_sgpr_flat_scratch_init 0
		.amdhsa_user_sgpr_kernarg_preload_length 0
		.amdhsa_user_sgpr_kernarg_preload_offset 0
		.amdhsa_user_sgpr_private_segment_size 0
		.amdhsa_uses_dynamic_stack 0
		.amdhsa_system_sgpr_private_segment_wavefront_offset 0
		.amdhsa_system_sgpr_workgroup_id_x 1
		.amdhsa_system_sgpr_workgroup_id_y 0
		.amdhsa_system_sgpr_workgroup_id_z 0
		.amdhsa_system_sgpr_workgroup_info 0
		.amdhsa_system_vgpr_workitem_id 0
		.amdhsa_next_free_vgpr 46
		.amdhsa_next_free_sgpr 40
		.amdhsa_accum_offset 48
		.amdhsa_reserve_vcc 1
		.amdhsa_reserve_flat_scratch 0
		.amdhsa_float_round_mode_32 0
		.amdhsa_float_round_mode_16_64 0
		.amdhsa_float_denorm_mode_32 3
		.amdhsa_float_denorm_mode_16_64 3
		.amdhsa_dx10_clamp 1
		.amdhsa_ieee_mode 1
		.amdhsa_fp16_overflow 0
		.amdhsa_tg_split 0
		.amdhsa_exception_fp_ieee_invalid_op 0
		.amdhsa_exception_fp_denorm_src 0
		.amdhsa_exception_fp_ieee_div_zero 0
		.amdhsa_exception_fp_ieee_overflow 0
		.amdhsa_exception_fp_ieee_underflow 0
		.amdhsa_exception_fp_ieee_inexact 0
		.amdhsa_exception_int_div_zero 0
	.end_amdhsa_kernel
	.section	.text._ZN4vllm24swigluoai_and_mul_kernelIfTnPFT_RKS1_S3_ffEXadL_ZNS_17swigluoai_and_mulIfEES1_S3_S3_ffEEEEvPS1_PS2_iff,"axG",@progbits,_ZN4vllm24swigluoai_and_mul_kernelIfTnPFT_RKS1_S3_ffEXadL_ZNS_17swigluoai_and_mulIfEES1_S3_S3_ffEEEEvPS1_PS2_iff,comdat
.Lfunc_end56:
	.size	_ZN4vllm24swigluoai_and_mul_kernelIfTnPFT_RKS1_S3_ffEXadL_ZNS_17swigluoai_and_mulIfEES1_S3_S3_ffEEEEvPS1_PS2_iff, .Lfunc_end56-_ZN4vllm24swigluoai_and_mul_kernelIfTnPFT_RKS1_S3_ffEXadL_ZNS_17swigluoai_and_mulIfEES1_S3_S3_ffEEEEvPS1_PS2_iff
                                        ; -- End function
	.section	.AMDGPU.csdata,"",@progbits
; Kernel info:
; codeLenInByte = 4556
; NumSgprs: 44
; NumVgprs: 46
; NumAgprs: 0
; TotalNumVgprs: 46
; ScratchSize: 0
; MemoryBound: 0
; FloatMode: 240
; IeeeMode: 1
; LDSByteSize: 0 bytes/workgroup (compile time only)
; SGPRBlocks: 5
; VGPRBlocks: 5
; NumSGPRsForWavesPerEU: 44
; NumVGPRsForWavesPerEU: 46
; AccumOffset: 48
; Occupancy: 8
; WaveLimiterHint : 0
; COMPUTE_PGM_RSRC2:SCRATCH_EN: 0
; COMPUTE_PGM_RSRC2:USER_SGPR: 6
; COMPUTE_PGM_RSRC2:TRAP_HANDLER: 0
; COMPUTE_PGM_RSRC2:TGID_X_EN: 1
; COMPUTE_PGM_RSRC2:TGID_Y_EN: 0
; COMPUTE_PGM_RSRC2:TGID_Z_EN: 0
; COMPUTE_PGM_RSRC2:TIDIG_COMP_CNT: 0
; COMPUTE_PGM_RSRC3_GFX90A:ACCUM_OFFSET: 11
; COMPUTE_PGM_RSRC3_GFX90A:TG_SPLIT: 0
	.section	.text._ZN4vllm24swigluoai_and_mul_kernelIN3c104HalfETnPFT_RKS3_S5_ffEXadL_ZNS_17swigluoai_and_mulIS2_EES3_S5_S5_ffEEEEvPS3_PS4_iff,"axG",@progbits,_ZN4vllm24swigluoai_and_mul_kernelIN3c104HalfETnPFT_RKS3_S5_ffEXadL_ZNS_17swigluoai_and_mulIS2_EES3_S5_S5_ffEEEEvPS3_PS4_iff,comdat
	.protected	_ZN4vllm24swigluoai_and_mul_kernelIN3c104HalfETnPFT_RKS3_S5_ffEXadL_ZNS_17swigluoai_and_mulIS2_EES3_S5_S5_ffEEEEvPS3_PS4_iff ; -- Begin function _ZN4vllm24swigluoai_and_mul_kernelIN3c104HalfETnPFT_RKS3_S5_ffEXadL_ZNS_17swigluoai_and_mulIS2_EES3_S5_S5_ffEEEEvPS3_PS4_iff
	.globl	_ZN4vllm24swigluoai_and_mul_kernelIN3c104HalfETnPFT_RKS3_S5_ffEXadL_ZNS_17swigluoai_and_mulIS2_EES3_S5_S5_ffEEEEvPS3_PS4_iff
	.p2align	8
	.type	_ZN4vllm24swigluoai_and_mul_kernelIN3c104HalfETnPFT_RKS3_S5_ffEXadL_ZNS_17swigluoai_and_mulIS2_EES3_S5_S5_ffEEEEvPS3_PS4_iff,@function
_ZN4vllm24swigluoai_and_mul_kernelIN3c104HalfETnPFT_RKS3_S5_ffEXadL_ZNS_17swigluoai_and_mulIS2_EES3_S5_S5_ffEEEEvPS3_PS4_iff: ; @_ZN4vllm24swigluoai_and_mul_kernelIN3c104HalfETnPFT_RKS3_S5_ffEXadL_ZNS_17swigluoai_and_mulIS2_EES3_S5_S5_ffEEEEvPS3_PS4_iff
; %bb.0:
	s_load_dwordx8 s[8:15], s[4:5], 0x0
	s_mov_b32 s7, 0
	s_waitcnt lgkmcnt(0)
	s_ashr_i32 s17, s12, 31
	s_mul_hi_u32 s0, s12, s6
	s_mul_i32 s1, s17, s6
	s_add_i32 s1, s0, s1
	s_mul_i32 s0, s12, s6
	s_lshl_b64 s[20:21], s[0:1], 1
	s_lshl_b64 s[18:19], s[0:1], 2
	s_add_u32 s33, s10, s18
	s_addc_u32 s36, s11, s19
	s_add_u32 s34, s8, s20
	s_addc_u32 s35, s9, s21
	s_and_b32 s6, s33, 15
	s_cmp_lg_u64 s[6:7], 0
	s_cselect_b64 s[2:3], -1, 0
	s_mov_b32 s16, s12
	s_mov_b64 s[0:1], 0
	s_and_b64 vcc, exec, s[2:3]
	s_cbranch_vccz .LBB57_3
; %bb.1:
	s_andn2_b64 vcc, exec, s[2:3]
	s_cbranch_vccz .LBB57_4
.LBB57_2:
	s_andn2_b64 vcc, exec, s[0:1]
	s_cbranch_vccz .LBB57_17
	s_branch .LBB57_30
.LBB57_3:
	s_and_b32 s6, s34, 7
	s_cmp_lg_u64 s[6:7], 0
	s_cselect_b64 s[0:1], -1, 0
	s_cmp_lt_i32 s16, 4
	s_cselect_b64 s[2:3], -1, 0
	s_or_b64 s[2:3], s[2:3], s[0:1]
	s_mov_b64 s[0:1], -1
	s_andn2_b64 vcc, exec, s[2:3]
	s_cbranch_vccnz .LBB57_2
.LBB57_4:
	v_cmp_gt_i32_e32 vcc, s16, v0
	s_and_saveexec_b64 s[22:23], vcc
	s_cbranch_execz .LBB57_16
; %bb.5:
	s_load_dword s0, s[4:5], 0x2c
	v_mov_b32_e32 v1, s17
	v_mov_b32_e32 v3, 0
	s_mov_b32 s15, 0
	v_mov_b32_e32 v2, v0
	s_waitcnt lgkmcnt(0)
	s_and_b32 s12, s0, 0xffff
	v_add_co_u32_e32 v6, vcc, s12, v0
	v_addc_co_u32_e64 v7, s[0:1], 0, 0, vcc
	v_cmp_lt_i64_e32 vcc, s[16:17], v[6:7]
	v_cndmask_b32_e32 v5, v1, v7, vcc
	v_mov_b32_e32 v1, s16
	v_cndmask_b32_e32 v1, v1, v6, vcc
	v_cmp_gt_i64_e32 vcc, s[16:17], v[6:7]
	v_cndmask_b32_e64 v4, 0, 1, vcc
	v_add_co_u32_e32 v6, vcc, v6, v4
	v_addc_co_u32_e32 v7, vcc, 0, v7, vcc
	v_sub_co_u32_e32 v1, vcc, v1, v6
	v_subb_co_u32_e32 v7, vcc, v5, v7, vcc
	v_mov_b32_e32 v6, v3
	v_cmp_ne_u64_e32 vcc, 0, v[6:7]
                                        ; implicit-def: $vgpr8_vgpr9
	s_and_saveexec_b64 s[0:1], vcc
	s_xor_b64 s[2:3], exec, s[0:1]
	s_cbranch_execz .LBB57_7
; %bb.6:
	v_cvt_f32_u32_e32 v5, s12
	v_mov_b32_e32 v6, 0x4f800000
	s_sub_u32 s0, 0, s12
	s_subb_u32 s1, 0, 0
	v_mac_f32_e32 v5, 0, v6
	v_rcp_f32_e32 v5, v5
	v_mul_f32_e32 v5, 0x5f7ffffc, v5
	v_mul_f32_e32 v6, 0x2f800000, v5
	v_trunc_f32_e32 v6, v6
	v_madmk_f32 v5, v6, 0xcf800000, v5
	v_cvt_u32_f32_e32 v6, v6
	v_cvt_u32_f32_e32 v5, v5
	v_mul_lo_u32 v8, s0, v6
	v_mul_hi_u32 v10, s0, v5
	v_mul_lo_u32 v9, s1, v5
	v_add_u32_e32 v8, v10, v8
	v_mul_lo_u32 v11, s0, v5
	v_add_u32_e32 v8, v8, v9
	v_mul_hi_u32 v10, v5, v11
	v_mul_lo_u32 v12, v5, v8
	v_mul_hi_u32 v9, v5, v8
	v_add_co_u32_e32 v10, vcc, v10, v12
	v_addc_co_u32_e32 v9, vcc, 0, v9, vcc
	v_mul_hi_u32 v13, v6, v11
	v_mul_lo_u32 v11, v6, v11
	v_add_co_u32_e32 v10, vcc, v10, v11
	v_mul_hi_u32 v12, v6, v8
	v_addc_co_u32_e32 v9, vcc, v9, v13, vcc
	v_addc_co_u32_e32 v10, vcc, 0, v12, vcc
	v_mul_lo_u32 v8, v6, v8
	v_add_co_u32_e32 v8, vcc, v9, v8
	v_addc_co_u32_e32 v9, vcc, 0, v10, vcc
	v_add_co_u32_e32 v5, vcc, v5, v8
	v_addc_co_u32_e32 v6, vcc, v6, v9, vcc
	v_mul_lo_u32 v8, s0, v6
	v_mul_hi_u32 v9, s0, v5
	v_add_u32_e32 v8, v9, v8
	v_mul_lo_u32 v9, s1, v5
	v_add_u32_e32 v8, v8, v9
	v_mul_lo_u32 v10, s0, v5
	v_mul_hi_u32 v11, v6, v10
	v_mul_lo_u32 v12, v6, v10
	v_mul_lo_u32 v14, v5, v8
	v_mul_hi_u32 v10, v5, v10
	v_mul_hi_u32 v13, v5, v8
	v_add_co_u32_e32 v10, vcc, v10, v14
	v_addc_co_u32_e32 v13, vcc, 0, v13, vcc
	v_add_co_u32_e32 v10, vcc, v10, v12
	v_mul_hi_u32 v9, v6, v8
	v_addc_co_u32_e32 v10, vcc, v13, v11, vcc
	v_addc_co_u32_e32 v9, vcc, 0, v9, vcc
	v_mul_lo_u32 v8, v6, v8
	v_add_co_u32_e32 v8, vcc, v10, v8
	v_addc_co_u32_e32 v9, vcc, 0, v9, vcc
	v_add_co_u32_e32 v5, vcc, v5, v8
	v_addc_co_u32_e32 v6, vcc, v6, v9, vcc
	v_mad_u64_u32 v[8:9], s[0:1], v1, v6, 0
	v_mul_hi_u32 v10, v1, v5
	v_add_co_u32_e32 v12, vcc, v10, v8
	v_addc_co_u32_e32 v13, vcc, 0, v9, vcc
	v_mad_u64_u32 v[10:11], s[0:1], v7, v5, 0
	v_add_co_u32_e32 v5, vcc, v12, v10
	v_mad_u64_u32 v[8:9], s[0:1], v7, v6, 0
	v_addc_co_u32_e32 v5, vcc, v13, v11, vcc
	v_addc_co_u32_e32 v6, vcc, 0, v9, vcc
	v_add_co_u32_e32 v5, vcc, v5, v8
	v_mad_u64_u32 v[8:9], s[0:1], s12, v5, 0
	v_addc_co_u32_e32 v12, vcc, 0, v6, vcc
	v_mov_b32_e32 v6, v9
	v_mad_u64_u32 v[10:11], s[0:1], s12, v12, v[6:7]
	v_sub_co_u32_e32 v1, vcc, v1, v8
	v_subb_co_u32_e32 v6, vcc, v7, v10, vcc
	v_subrev_co_u32_e32 v7, vcc, s12, v1
	v_subbrev_co_u32_e32 v8, vcc, 0, v6, vcc
	v_cmp_le_u32_e32 vcc, s12, v7
	v_cndmask_b32_e64 v7, 0, -1, vcc
	v_cmp_eq_u32_e32 vcc, 0, v8
	v_cndmask_b32_e32 v7, -1, v7, vcc
	v_add_co_u32_e32 v8, vcc, 2, v5
	v_addc_co_u32_e32 v9, vcc, 0, v12, vcc
	v_add_co_u32_e32 v10, vcc, 1, v5
	v_cmp_le_u32_e64 s[0:1], s12, v1
	v_addc_co_u32_e32 v11, vcc, 0, v12, vcc
	v_cndmask_b32_e64 v1, 0, -1, s[0:1]
	v_cmp_eq_u32_e64 s[0:1], 0, v6
	v_cmp_ne_u32_e32 vcc, 0, v7
	v_cndmask_b32_e64 v1, -1, v1, s[0:1]
	v_cndmask_b32_e32 v7, v11, v9, vcc
	v_cmp_ne_u32_e64 s[0:1], 0, v1
	v_cndmask_b32_e32 v1, v10, v8, vcc
	v_cndmask_b32_e64 v9, v12, v7, s[0:1]
	v_cndmask_b32_e64 v8, v5, v1, s[0:1]
                                        ; implicit-def: $vgpr1
.LBB57_7:
	s_andn2_saveexec_b64 s[0:1], s[2:3]
	s_cbranch_execz .LBB57_9
; %bb.8:
	v_cvt_f32_u32_e32 v5, s12
	s_sub_i32 s2, 0, s12
	v_mov_b32_e32 v9, 0
	v_rcp_iflag_f32_e32 v5, v5
	v_mul_f32_e32 v5, 0x4f7ffffe, v5
	v_cvt_u32_f32_e32 v5, v5
	v_mul_lo_u32 v6, s2, v5
	v_mul_hi_u32 v6, v5, v6
	v_add_u32_e32 v5, v5, v6
	v_mul_hi_u32 v5, v1, v5
	v_mul_lo_u32 v6, v5, s12
	v_sub_u32_e32 v1, v1, v6
	v_add_u32_e32 v7, 1, v5
	v_subrev_u32_e32 v6, s12, v1
	v_cmp_le_u32_e32 vcc, s12, v1
	v_cndmask_b32_e32 v1, v1, v6, vcc
	v_cndmask_b32_e32 v5, v5, v7, vcc
	v_add_u32_e32 v6, 1, v5
	v_cmp_le_u32_e32 vcc, s12, v1
	v_cndmask_b32_e32 v8, v5, v6, vcc
.LBB57_9:
	s_or_b64 exec, exec, s[0:1]
	v_add_co_u32_e32 v1, vcc, v8, v4
	v_addc_co_u32_e32 v4, vcc, 0, v9, vcc
	v_add_co_u32_e32 v12, vcc, 1, v1
	v_addc_co_u32_e32 v13, vcc, 0, v4, vcc
	v_cmp_lt_u64_e32 vcc, 3, v[12:13]
	v_cmp_eq_u16_e64 s[0:1], s12, 1
	s_and_b64 s[2:3], vcc, s[0:1]
	s_mov_b64 s[0:1], -1
	s_and_saveexec_b64 s[24:25], s[2:3]
	s_cbranch_execz .LBB57_13
; %bb.10:
	v_lshlrev_b32_e32 v1, 1, v2
	v_mad_u64_u32 v[8:9], s[0:1], s12, 3, v[2:3]
	v_mad_u64_u32 v[6:7], s[0:1], s12, 2, v[2:3]
	v_mad_u64_u32 v[4:5], s[0:1], s12, 1, v[2:3]
	s_xor_b32 s6, s14, 0x80000000
	v_mov_b32_e32 v10, s35
	v_add_co_u32_e32 v16, vcc, s34, v1
	v_and_b32_e32 v14, -4, v12
	v_mov_b32_e32 v15, v13
	s_mov_b32 s0, s14
	s_mov_b32 s1, s14
	;; [unrolled: 1-line block ×8, first 2 shown]
	v_addc_co_u32_e32 v17, vcc, 0, v10, vcc
	v_pk_mov_b32 v[10:11], v[8:9], v[8:9] op_sel:[0,1]
	s_mov_b32 s26, s13
	s_mov_b32 s27, s13
	;; [unrolled: 1-line block ×4, first 2 shown]
	s_lshl_b32 s37, s12, 3
	s_mov_b64 s[30:31], 0
	v_mov_b32_e32 v1, s36
	v_max_f32_e64 v36, s1, s1
	v_max_f32_e64 v37, s0, s0
	;; [unrolled: 1-line block ×8, first 2 shown]
	s_mov_b32 s38, 0x3fb8aa3b
	s_mov_b32 s39, 0xc2ce8ed0
	;; [unrolled: 1-line block ×3, first 2 shown]
	v_mov_b32_e32 v44, 0x7f800000
	v_mov_b32_e32 v45, s41
	v_pk_mov_b32 v[18:19], v[14:15], v[14:15] op_sel:[0,1]
	v_pk_mov_b32 v[8:9], v[6:7], v[6:7] op_sel:[0,1]
	;; [unrolled: 1-line block ×4, first 2 shown]
.LBB57_11:                              ; =>This Inner Loop Header: Depth=1
	v_lshlrev_b64 v[26:27], 1, v[10:11]
	v_lshlrev_b64 v[34:35], 2, v[10:11]
	v_add_co_u32_e32 v10, vcc, 4, v10
	v_addc_co_u32_e32 v11, vcc, 0, v11, vcc
	v_lshlrev_b64 v[24:25], 1, v[8:9]
	v_lshlrev_b64 v[32:33], 2, v[8:9]
	v_add_co_u32_e32 v8, vcc, 4, v8
	v_addc_co_u32_e32 v9, vcc, 0, v9, vcc
	;; [unrolled: 4-line block ×4, first 2 shown]
	v_add_co_u32_e32 v18, vcc, -4, v18
	v_addc_co_u32_e32 v19, vcc, -1, v19, vcc
	v_add_co_u32_e32 v28, vcc, s33, v28
	v_addc_co_u32_e32 v29, vcc, v1, v29, vcc
	v_add_co_u32_e32 v30, vcc, s33, v30
	v_addc_co_u32_e32 v31, vcc, v1, v31, vcc
	;; [unrolled: 2-line block ×4, first 2 shown]
	v_or_b32_e32 v20, 1, v20
	v_cmp_eq_u64_e32 vcc, 0, v[18:19]
	v_lshlrev_b64 v[20:21], 1, v[20:21]
	v_or_b32_e32 v22, 1, v22
	s_or_b64 s[30:31], vcc, s[30:31]
	v_add_co_u32_e32 v20, vcc, s33, v20
	v_lshlrev_b64 v[22:23], 1, v[22:23]
	v_addc_co_u32_e32 v21, vcc, v1, v21, vcc
	v_or_b32_e32 v24, 1, v24
	v_add_co_u32_e32 v22, vcc, s33, v22
	v_lshlrev_b64 v[24:25], 1, v[24:25]
	v_addc_co_u32_e32 v23, vcc, v1, v23, vcc
	v_or_b32_e32 v26, 1, v26
	v_add_co_u32_e32 v24, vcc, s33, v24
	v_lshlrev_b64 v[26:27], 1, v[26:27]
	v_addc_co_u32_e32 v25, vcc, v1, v25, vcc
	v_add_co_u32_e32 v26, vcc, s33, v26
	v_addc_co_u32_e32 v27, vcc, v1, v27, vcc
	global_load_ushort v46, v[28:29], off
	global_load_ushort v47, v[30:31], off
	;; [unrolled: 1-line block ×4, first 2 shown]
	s_nop 0
	global_load_ushort v28, v[26:27], off
	global_load_ushort v29, v[24:25], off
	;; [unrolled: 1-line block ×4, first 2 shown]
	s_waitcnt vmcnt(7)
	v_cvt_f32_f16_e32 v20, v46
	s_waitcnt vmcnt(6)
	v_cvt_f32_f16_e32 v21, v47
	;; [unrolled: 2-line block ×8, first 2 shown]
	v_min_f32_e32 v21, v21, v36
	v_min_f32_e32 v20, v20, v37
	v_xor_b32_e32 v25, 0x80000000, v21
	v_xor_b32_e32 v24, 0x80000000, v20
	v_min_f32_e32 v23, v23, v38
	v_min_f32_e32 v22, v22, v39
	;; [unrolled: 1-line block ×6, first 2 shown]
	v_pk_mul_f32 v[24:25], s[26:27], v[24:25]
	v_xor_b32_e32 v27, 0x80000000, v23
	v_xor_b32_e32 v26, 0x80000000, v22
	v_max_f32_e32 v29, v28, v40
	v_max_f32_e32 v28, v31, v41
	;; [unrolled: 1-line block ×4, first 2 shown]
	v_mul_f32_e32 v32, 0x3fb8aa3b, v25
	v_mul_f32_e32 v33, 0x3fb8aa3b, v24
	v_pk_mul_f32 v[26:27], s[28:29], v[26:27]
	v_pk_add_f32 v[30:31], v[30:31], 1.0 op_sel_hi:[1,0]
	v_pk_add_f32 v[28:29], v[28:29], 1.0 op_sel_hi:[1,0]
	v_fma_f32 v46, v25, s38, -v32
	v_rndne_f32_e32 v47, v32
	v_fma_f32 v48, v24, s38, -v33
	v_rndne_f32_e32 v49, v33
	v_mul_f32_e32 v34, 0x3fb8aa3b, v27
	v_mul_f32_e32 v35, 0x3fb8aa3b, v26
	v_pk_mul_f32 v[22:23], v[22:23], v[28:29]
	v_pk_mul_f32 v[20:21], v[20:21], v[30:31]
	v_fmac_f32_e32 v46, 0x32a5705f, v25
	v_sub_f32_e32 v28, v32, v47
	v_fmac_f32_e32 v48, 0x32a5705f, v24
	v_sub_f32_e32 v30, v33, v49
	v_fma_f32 v50, v27, s38, -v34
	v_rndne_f32_e32 v51, v34
	v_fma_f32 v52, v26, s38, -v35
	v_rndne_f32_e32 v53, v35
	v_add_f32_e32 v28, v28, v46
	v_add_f32_e32 v30, v30, v48
	v_cvt_i32_f32_e32 v29, v47
	v_cvt_i32_f32_e32 v31, v49
	v_fmac_f32_e32 v50, 0x32a5705f, v27
	v_sub_f32_e32 v32, v34, v51
	v_fmac_f32_e32 v52, 0x32a5705f, v26
	v_sub_f32_e32 v34, v35, v53
	v_exp_f32_e32 v28, v28
	v_exp_f32_e32 v30, v30
	v_add_f32_e32 v32, v32, v50
	v_add_f32_e32 v34, v34, v52
	v_cvt_i32_f32_e32 v33, v51
	v_cvt_i32_f32_e32 v35, v53
	v_exp_f32_e32 v32, v32
	v_exp_f32_e32 v34, v34
	v_ldexp_f32 v28, v28, v29
	v_ldexp_f32 v29, v30, v31
	v_cmp_ngt_f32_e32 vcc, s39, v24
	v_cmp_ngt_f32_e64 s[6:7], s39, v25
	v_cndmask_b32_e64 v28, 0, v28, s[6:7]
	v_cndmask_b32_e32 v29, 0, v29, vcc
	v_cmp_nlt_f32_e32 vcc, s40, v24
	v_cmp_nlt_f32_e64 s[6:7], s40, v25
	v_ldexp_f32 v30, v32, v33
	v_cmp_ngt_f32_e64 s[0:1], s39, v27
	v_ldexp_f32 v31, v34, v35
	v_cmp_ngt_f32_e64 s[2:3], s39, v26
	v_cndmask_b32_e64 v25, v44, v28, s[6:7]
	v_cndmask_b32_e32 v24, v44, v29, vcc
	v_cndmask_b32_e64 v30, 0, v30, s[0:1]
	v_cmp_nlt_f32_e64 s[0:1], s40, v27
	v_cndmask_b32_e64 v31, 0, v31, s[2:3]
	v_cmp_nlt_f32_e64 s[2:3], s40, v26
	v_pk_add_f32 v[24:25], v[24:25], 1.0 op_sel_hi:[1,0]
	v_cndmask_b32_e64 v27, v44, v30, s[0:1]
	v_cndmask_b32_e64 v26, v44, v31, s[2:3]
	v_div_scale_f32 v28, s[0:1], v24, v24, v20
	v_pk_add_f32 v[26:27], v[26:27], 1.0 op_sel_hi:[1,0]
	v_div_scale_f32 v30, s[0:1], v25, v25, v21
	v_rcp_f32_e32 v46, v28
	v_div_scale_f32 v32, s[2:3], v26, v26, v22
	v_rcp_f32_e32 v47, v30
	;; [unrolled: 2-line block ×3, first 2 shown]
	v_rcp_f32_e32 v49, v34
	v_fma_f32 v50, -v28, v46, 1.0
	v_div_scale_f32 v29, vcc, v20, v24, v20
	v_fma_f32 v51, -v30, v47, 1.0
	v_fmac_f32_e32 v46, v50, v46
	v_div_scale_f32 v31, s[0:1], v21, v25, v21
	v_fma_f32 v52, -v32, v48, 1.0
	v_fmac_f32_e32 v47, v51, v47
	v_mul_f32_e32 v50, v29, v46
	v_div_scale_f32 v33, s[2:3], v22, v26, v22
	v_fma_f32 v53, -v34, v49, 1.0
	v_fmac_f32_e32 v48, v52, v48
	v_mul_f32_e32 v51, v31, v47
	v_fma_f32 v54, -v28, v50, v29
	v_div_scale_f32 v35, s[6:7], v23, v27, v23
	v_fmac_f32_e32 v49, v53, v49
	v_mul_f32_e32 v52, v33, v48
	v_fma_f32 v55, -v30, v51, v31
	v_fmac_f32_e32 v50, v54, v46
	v_mul_f32_e32 v53, v35, v49
	v_fma_f32 v56, -v32, v52, v33
	v_fmac_f32_e32 v51, v55, v47
	v_fma_f32 v28, -v28, v50, v29
	v_fma_f32 v57, -v34, v53, v35
	v_fmac_f32_e32 v52, v56, v48
	v_fma_f32 v29, -v30, v51, v31
	v_div_fmas_f32 v28, v28, v46, v50
	s_mov_b64 vcc, s[0:1]
	v_fmac_f32_e32 v53, v57, v49
	v_fma_f32 v30, -v32, v52, v33
	v_div_fixup_f32 v20, v28, v24, v20
	v_div_fmas_f32 v24, v29, v47, v51
	s_mov_b64 vcc, s[2:3]
	v_fma_f32 v31, -v34, v53, v35
	v_div_fixup_f32 v21, v24, v25, v21
	v_div_fmas_f32 v24, v30, v48, v52
	s_mov_b64 vcc, s[6:7]
	v_div_fixup_f32 v22, v24, v26, v22
	v_div_fmas_f32 v24, v31, v49, v53
	v_div_fixup_f32 v23, v24, v27, v23
	v_cvt_f16_f32_e32 v20, v20
	v_cvt_f16_f32_e32 v21, v21
	;; [unrolled: 1-line block ×4, first 2 shown]
	v_pack_b32_f16 v20, v20, v21
	v_pack_b32_f16 v21, v22, v23
	global_store_dwordx2 v[16:17], v[20:21], off
	v_add_co_u32_e32 v16, vcc, s37, v16
	v_addc_co_u32_e32 v17, vcc, v17, v45, vcc
	s_andn2_b64 exec, exec, s[30:31]
	s_cbranch_execnz .LBB57_11
; %bb.12:
	s_or_b64 exec, exec, s[30:31]
	v_mad_u64_u32 v[2:3], s[0:1], v14, s12, v[2:3]
	v_mov_b32_e32 v4, v3
                                        ; kill: def $vgpr1 killed $sgpr0 killed $exec
	v_mad_u64_u32 v[4:5], s[0:1], v15, s12, v[4:5]
	v_cmp_ne_u64_e32 vcc, v[12:13], v[14:15]
	v_mov_b32_e32 v3, v4
	s_orn2_b64 s[0:1], vcc, exec
.LBB57_13:
	s_or_b64 exec, exec, s[24:25]
	s_and_b64 exec, exec, s[0:1]
	s_cbranch_execz .LBB57_16
; %bb.14:
	s_add_u32 s0, s10, s18
	v_lshlrev_b64 v[4:5], 2, v[2:3]
	s_addc_u32 s1, s11, s19
	v_mov_b32_e32 v1, s1
	v_add_co_u32_e32 v4, vcc, s0, v4
	v_addc_co_u32_e32 v1, vcc, v1, v5, vcc
	s_lshl_b32 s2, s12, 2
	v_add_co_u32_e32 v4, vcc, 2, v4
	s_add_u32 s0, s8, s20
	v_addc_co_u32_e32 v5, vcc, 0, v1, vcc
	v_lshlrev_b64 v[6:7], 1, v[2:3]
	s_addc_u32 s1, s9, s21
	s_mov_b32 s25, 0
	v_mov_b32_e32 v1, s1
	v_add_co_u32_e32 v6, vcc, s0, v6
	v_addc_co_u32_e32 v7, vcc, v1, v7, vcc
	s_lshl_b32 s3, s12, 1
	s_mov_b64 s[0:1], 0
	v_max_f32_e64 v1, s14, s14
	v_max_f32_e64 v8, -s14, -s14
	s_mov_b32 s6, 0x3fb8aa3b
	s_mov_b32 s7, 0xc2ce8ed0
	;; [unrolled: 1-line block ×3, first 2 shown]
	v_mov_b32_e32 v9, 0x7f800000
	v_mov_b32_e32 v10, s15
	v_mov_b32_e32 v11, s25
	v_mov_b32_e32 v12, s25
.LBB57_15:                              ; =>This Inner Loop Header: Depth=1
	global_load_dword v13, v[4:5], off offset:-2
	v_add_co_u32_e32 v2, vcc, s12, v2
	v_addc_co_u32_e32 v3, vcc, v3, v10, vcc
	v_add_co_u32_e32 v4, vcc, s2, v4
	v_addc_co_u32_e32 v5, vcc, v5, v11, vcc
	v_cmp_le_i64_e32 vcc, s[16:17], v[2:3]
	s_or_b64 s[0:1], vcc, s[0:1]
	s_waitcnt vmcnt(0)
	v_cvt_f32_f16_e32 v14, v13
	v_cvt_f32_f16_sdwa v13, v13 dst_sel:DWORD dst_unused:UNUSED_PAD src0_sel:WORD_1
	v_min_f32_e32 v16, v14, v1
	v_min_f32_e32 v13, v13, v1
	v_max_f32_e32 v14, v13, v8
	v_mul_f32_e64 v13, -v16, s13
	v_mul_f32_e32 v15, 0x3fb8aa3b, v13
	v_fma_f32 v17, v13, s6, -v15
	v_rndne_f32_e32 v18, v15
	v_fmac_f32_e32 v17, 0x32a5705f, v13
	v_sub_f32_e32 v15, v15, v18
	v_add_f32_e32 v15, v15, v17
	v_cvt_i32_f32_e32 v18, v18
	v_exp_f32_e32 v15, v15
	v_cmp_ngt_f32_e32 vcc, s7, v13
	v_ldexp_f32 v15, v15, v18
	v_cndmask_b32_e32 v15, 0, v15, vcc
	v_cmp_nlt_f32_e32 vcc, s24, v13
	v_cndmask_b32_e32 v15, v9, v15, vcc
	v_pk_add_f32 v[14:15], v[14:15], 1.0 op_sel_hi:[1,0]
	v_mul_f32_e32 v13, v16, v14
	v_div_scale_f32 v14, s[26:27], v15, v15, v13
	v_rcp_f32_e32 v17, v14
	v_div_scale_f32 v16, vcc, v13, v15, v13
	v_fma_f32 v18, -v14, v17, 1.0
	v_fmac_f32_e32 v17, v18, v17
	v_mul_f32_e32 v18, v16, v17
	v_fma_f32 v19, -v14, v18, v16
	v_fmac_f32_e32 v18, v19, v17
	v_fma_f32 v14, -v14, v18, v16
	v_div_fmas_f32 v14, v14, v17, v18
	v_div_fixup_f32 v13, v14, v15, v13
	v_cvt_f16_f32_e32 v13, v13
	global_store_short v[6:7], v13, off
	v_add_co_u32_e32 v6, vcc, s3, v6
	v_addc_co_u32_e32 v7, vcc, v7, v12, vcc
	s_andn2_b64 exec, exec, s[0:1]
	s_cbranch_execnz .LBB57_15
.LBB57_16:
	s_or_b64 exec, exec, s[22:23]
	s_cbranch_execnz .LBB57_30
.LBB57_17:
	s_lshr_b32 s17, s16, 2
	v_cmp_gt_u32_e32 vcc, s17, v0
	s_and_saveexec_b64 s[22:23], vcc
	s_cbranch_execz .LBB57_27
; %bb.18:
	s_load_dword s0, s[4:5], 0x2c
                                        ; implicit-def: $vgpr6
                                        ; implicit-def: $sgpr24_sgpr25
                                        ; implicit-def: $sgpr6_sgpr7
	s_waitcnt lgkmcnt(0)
	s_and_b32 s28, s0, 0xffff
	v_cvt_f32_u32_e32 v1, s28
	v_add_u32_e32 v2, s28, v0
	v_mov_b32_e32 v3, s28
	v_cmp_gt_u32_e32 vcc, s17, v2
	v_rcp_iflag_f32_e32 v1, v1
	s_cmp_lg_u32 s28, 1
	v_max_u32_e32 v4, s17, v2
	v_addc_co_u32_e64 v2, s[0:1], v0, v3, vcc
	v_mul_f32_e32 v1, 0x4f7ffffe, v1
	v_cvt_u32_f32_e32 v1, v1
	s_cselect_b64 s[2:3], -1, 0
	s_sub_i32 s0, 0, s28
	v_sub_u32_e32 v2, v4, v2
	v_mul_lo_u32 v3, s0, v1
	v_mul_hi_u32 v3, v1, v3
	v_add_u32_e32 v1, v1, v3
	v_mul_hi_u32 v1, v2, v1
	v_mul_lo_u32 v3, v1, s28
	v_sub_u32_e32 v2, v2, v3
	v_add_u32_e32 v4, 1, v1
	v_cmp_le_u32_e64 s[0:1], s28, v2
	v_subrev_u32_e32 v3, s28, v2
	v_cndmask_b32_e64 v1, v1, v4, s[0:1]
	v_cndmask_b32_e64 v2, v2, v3, s[0:1]
	v_add_u32_e32 v3, 1, v1
	v_cmp_le_u32_e64 s[0:1], s28, v2
	v_cndmask_b32_e64 v1, v1, v3, s[0:1]
	v_addc_co_u32_e32 v16, vcc, 1, v1, vcc
	v_cmp_gt_u32_e32 vcc, 2, v16
	s_or_b64 s[2:3], vcc, s[2:3]
	s_mov_b64 s[0:1], 0
                                        ; kill: def $vgpr1 killed $sgpr0 killed $exec
	s_and_saveexec_b64 s[26:27], s[2:3]
	s_xor_b64 s[2:3], exec, s[26:27]
; %bb.19:
	s_mov_b64 s[0:1], exec
	s_xor_b32 s24, s14, 0x80000000
	s_mov_b32 s6, s13
	v_mov_b32_e32 v6, v0
                                        ; implicit-def: $vgpr16
; %bb.20:
	s_or_saveexec_b64 s[2:3], s[2:3]
	v_pk_mov_b32 v[4:5], s[14:15], s[14:15] op_sel:[0,1]
	v_pk_mov_b32 v[2:3], s[24:25], s[24:25] op_sel:[0,1]
	;; [unrolled: 1-line block ×3, first 2 shown]
	s_xor_b64 exec, exec, s[2:3]
	s_cbranch_execz .LBB57_24
; %bb.21:
	s_xor_b32 s6, s14, 0x80000000
	v_and_b32_e32 v17, -2, v16
	v_add_u32_e32 v1, 1, v0
	s_mov_b32 s7, s14
	s_mov_b32 s15, s6
	;; [unrolled: 1-line block ×4, first 2 shown]
	s_mov_b64 s[26:27], 0
	v_mov_b32_e32 v18, s36
	v_max_f32_e64 v19, s7, s7
	v_max_f32_e64 v20, s14, s14
	;; [unrolled: 1-line block ×4, first 2 shown]
	s_mov_b32 s7, 0x3fb8aa3b
	s_mov_b32 s15, 0xc2ce8ed0
	;; [unrolled: 1-line block ×3, first 2 shown]
	v_mov_b32_e32 v23, 0x7f800000
	v_mov_b32_e32 v24, s35
	;; [unrolled: 1-line block ×4, first 2 shown]
	v_pk_mov_b32 v[12:13], v[0:1], v[0:1] op_sel:[0,1]
.LBB57_22:                              ; =>This Inner Loop Header: Depth=1
	v_mov_b32_e32 v10, v12
	v_lshlrev_b64 v[2:3], 4, v[10:11]
	v_add_co_u32_e32 v26, vcc, s33, v2
	v_mov_b32_e32 v14, v13
	v_mov_b32_e32 v15, v11
	v_addc_co_u32_e32 v27, vcc, v18, v3, vcc
	v_lshlrev_b64 v[2:3], 4, v[14:15]
	v_add_co_u32_e32 v28, vcc, s33, v2
	v_addc_co_u32_e32 v29, vcc, v18, v3, vcc
	global_load_dwordx4 v[2:5], v[26:27], off
	global_load_dwordx4 v[6:9], v[28:29], off
	v_lshlrev_b64 v[14:15], 3, v[14:15]
	v_add_u32_e32 v25, -2, v25
	v_add_u32_e32 v13, 2, v13
	v_add_u32_e32 v12, 2, v12
	s_waitcnt vmcnt(1)
	v_cvt_f32_f16_e32 v1, v2
	s_waitcnt vmcnt(0)
	v_cvt_f32_f16_e32 v26, v6
	v_cvt_f32_f16_sdwa v2, v2 dst_sel:DWORD dst_unused:UNUSED_PAD src0_sel:WORD_1
	v_min_f32_e32 v27, v26, v19
	v_min_f32_e32 v26, v1, v20
	v_cvt_f32_f16_sdwa v1, v6 dst_sel:DWORD dst_unused:UNUSED_PAD src0_sel:WORD_1
	v_min_f32_e32 v2, v2, v20
	v_max_f32_e32 v28, v2, v22
	v_min_f32_e32 v1, v1, v19
	v_max_f32_e32 v29, v1, v21
	v_pk_add_f32 v[28:29], v[28:29], 1.0 op_sel_hi:[1,0]
	v_pk_mul_f32 v[28:29], v[26:27], v[28:29]
	v_pk_mul_f32 v[26:27], s[12:13], v[26:27] neg_lo:[0,1] neg_hi:[0,1]
	v_mul_f32_e32 v1, 0x3fb8aa3b, v27
	v_fma_f32 v2, v27, s7, -v1
	v_rndne_f32_e32 v6, v1
	v_fmac_f32_e32 v2, 0x32a5705f, v27
	v_sub_f32_e32 v1, v1, v6
	v_add_f32_e32 v1, v1, v2
	v_exp_f32_e32 v1, v1
	v_cvt_i32_f32_e32 v2, v6
	v_cmp_ngt_f32_e32 vcc, s15, v27
	v_ldexp_f32 v1, v1, v2
	v_cndmask_b32_e32 v1, 0, v1, vcc
	v_cmp_nlt_f32_e32 vcc, s25, v27
	v_cndmask_b32_e32 v27, v23, v1, vcc
	v_mul_f32_e32 v1, 0x3fb8aa3b, v26
	v_fma_f32 v2, v26, s7, -v1
	v_rndne_f32_e32 v6, v1
	v_fmac_f32_e32 v2, 0x32a5705f, v26
	v_sub_f32_e32 v1, v1, v6
	v_add_f32_e32 v1, v1, v2
	v_exp_f32_e32 v1, v1
	v_cvt_i32_f32_e32 v2, v6
	v_cmp_ngt_f32_e32 vcc, s15, v26
	v_ldexp_f32 v1, v1, v2
	v_cndmask_b32_e32 v1, 0, v1, vcc
	v_cmp_nlt_f32_e32 vcc, s25, v26
	v_cndmask_b32_e32 v26, v23, v1, vcc
	v_pk_add_f32 v[26:27], v[26:27], 1.0 op_sel_hi:[1,0]
	v_div_scale_f32 v1, s[30:31], v26, v26, v28
	v_rcp_f32_e32 v2, v1
	v_fma_f32 v6, -v1, v2, 1.0
	v_fmac_f32_e32 v2, v6, v2
	v_div_scale_f32 v6, vcc, v28, v26, v28
	v_mul_f32_e32 v30, v6, v2
	v_fma_f32 v31, -v1, v30, v6
	v_fmac_f32_e32 v30, v31, v2
	v_fma_f32 v1, -v1, v30, v6
	v_div_fmas_f32 v1, v1, v2, v30
	v_div_fixup_f32 v2, v1, v26, v28
	v_div_scale_f32 v1, s[30:31], v27, v27, v29
	v_rcp_f32_e32 v6, v1
	v_cvt_f16_f32_e32 v2, v2
	v_fma_f32 v26, -v1, v6, 1.0
	v_fmac_f32_e32 v6, v26, v6
	v_div_scale_f32 v26, vcc, v29, v27, v29
	v_mul_f32_e32 v28, v26, v6
	v_fma_f32 v30, -v1, v28, v26
	v_fmac_f32_e32 v28, v30, v6
	v_fma_f32 v1, -v1, v28, v26
	v_div_fmas_f32 v1, v1, v6, v28
	v_cvt_f32_f16_e32 v6, v3
	v_cvt_f32_f16_e32 v26, v7
	v_div_fixup_f32 v1, v1, v27, v29
	v_cvt_f32_f16_sdwa v3, v3 dst_sel:DWORD dst_unused:UNUSED_PAD src0_sel:WORD_1
	v_cvt_f16_f32_e32 v1, v1
	v_min_f32_e32 v27, v26, v19
	v_min_f32_e32 v26, v6, v20
	v_cvt_f32_f16_sdwa v6, v7 dst_sel:DWORD dst_unused:UNUSED_PAD src0_sel:WORD_1
	v_min_f32_e32 v3, v3, v20
	v_min_f32_e32 v6, v6, v19
	v_max_f32_e32 v7, v6, v21
	v_max_f32_e32 v6, v3, v22
	v_pk_add_f32 v[6:7], v[6:7], 1.0 op_sel_hi:[1,0]
	v_pk_mul_f32 v[6:7], v[26:27], v[6:7]
	v_pk_mul_f32 v[26:27], s[12:13], v[26:27] neg_lo:[0,1] neg_hi:[0,1]
	v_mul_f32_e32 v3, 0x3fb8aa3b, v27
	v_fma_f32 v28, v27, s7, -v3
	v_rndne_f32_e32 v29, v3
	v_fmac_f32_e32 v28, 0x32a5705f, v27
	v_sub_f32_e32 v3, v3, v29
	v_add_f32_e32 v3, v3, v28
	v_exp_f32_e32 v3, v3
	v_cvt_i32_f32_e32 v28, v29
	v_cmp_ngt_f32_e32 vcc, s15, v27
	v_ldexp_f32 v3, v3, v28
	v_cndmask_b32_e32 v3, 0, v3, vcc
	v_cmp_nlt_f32_e32 vcc, s25, v27
	v_cndmask_b32_e32 v27, v23, v3, vcc
	v_mul_f32_e32 v3, 0x3fb8aa3b, v26
	v_fma_f32 v28, v26, s7, -v3
	v_rndne_f32_e32 v29, v3
	v_fmac_f32_e32 v28, 0x32a5705f, v26
	v_sub_f32_e32 v3, v3, v29
	v_add_f32_e32 v3, v3, v28
	v_exp_f32_e32 v3, v3
	v_cvt_i32_f32_e32 v28, v29
	v_cmp_ngt_f32_e32 vcc, s15, v26
	v_ldexp_f32 v3, v3, v28
	v_cndmask_b32_e32 v3, 0, v3, vcc
	v_cmp_nlt_f32_e32 vcc, s25, v26
	v_cndmask_b32_e32 v26, v23, v3, vcc
	v_pk_add_f32 v[26:27], v[26:27], 1.0 op_sel_hi:[1,0]
	v_div_scale_f32 v3, s[30:31], v26, v26, v6
	v_rcp_f32_e32 v28, v3
	v_fma_f32 v29, -v3, v28, 1.0
	v_fmac_f32_e32 v28, v29, v28
	v_div_scale_f32 v29, vcc, v6, v26, v6
	v_mul_f32_e32 v30, v29, v28
	v_fma_f32 v31, -v3, v30, v29
	v_fmac_f32_e32 v30, v31, v28
	v_fma_f32 v3, -v3, v30, v29
	v_div_fmas_f32 v3, v3, v28, v30
	v_div_fixup_f32 v6, v3, v26, v6
	v_div_scale_f32 v3, s[30:31], v27, v27, v7
	v_rcp_f32_e32 v26, v3
	v_cvt_f16_f32_e32 v6, v6
	v_fma_f32 v28, -v3, v26, 1.0
	v_fmac_f32_e32 v26, v28, v26
	v_div_scale_f32 v28, vcc, v7, v27, v7
	v_mul_f32_e32 v29, v28, v26
	v_fma_f32 v30, -v3, v29, v28
	v_fmac_f32_e32 v29, v30, v26
	v_fma_f32 v3, -v3, v29, v28
	v_div_fmas_f32 v3, v3, v26, v29
	v_div_fixup_f32 v3, v3, v27, v7
	v_cvt_f32_f16_e32 v7, v4
	v_cvt_f32_f16_e32 v26, v8
	v_cvt_f32_f16_sdwa v4, v4 dst_sel:DWORD dst_unused:UNUSED_PAD src0_sel:WORD_1
	v_cvt_f16_f32_e32 v3, v3
	v_pack_b32_f16 v6, v2, v6
	v_min_f32_e32 v27, v26, v19
	v_min_f32_e32 v26, v7, v20
	v_cvt_f32_f16_sdwa v7, v8 dst_sel:DWORD dst_unused:UNUSED_PAD src0_sel:WORD_1
	v_min_f32_e32 v4, v4, v20
	v_max_f32_e32 v28, v4, v22
	v_min_f32_e32 v7, v7, v19
	v_max_f32_e32 v29, v7, v21
	v_pk_add_f32 v[28:29], v[28:29], 1.0 op_sel_hi:[1,0]
	v_pk_mul_f32 v[28:29], v[26:27], v[28:29]
	v_pk_mul_f32 v[26:27], s[12:13], v[26:27] neg_lo:[0,1] neg_hi:[0,1]
	v_mul_f32_e32 v4, 0x3fb8aa3b, v27
	v_fma_f32 v7, v27, s7, -v4
	v_rndne_f32_e32 v8, v4
	v_fmac_f32_e32 v7, 0x32a5705f, v27
	v_sub_f32_e32 v4, v4, v8
	v_add_f32_e32 v4, v4, v7
	v_exp_f32_e32 v4, v4
	v_cvt_i32_f32_e32 v7, v8
	v_cmp_ngt_f32_e32 vcc, s15, v27
	v_ldexp_f32 v4, v4, v7
	v_cndmask_b32_e32 v4, 0, v4, vcc
	v_cmp_nlt_f32_e32 vcc, s25, v27
	v_cndmask_b32_e32 v27, v23, v4, vcc
	v_mul_f32_e32 v4, 0x3fb8aa3b, v26
	v_fma_f32 v7, v26, s7, -v4
	v_rndne_f32_e32 v8, v4
	v_fmac_f32_e32 v7, 0x32a5705f, v26
	v_sub_f32_e32 v4, v4, v8
	v_add_f32_e32 v4, v4, v7
	v_exp_f32_e32 v4, v4
	v_cvt_i32_f32_e32 v7, v8
	v_cmp_ngt_f32_e32 vcc, s15, v26
	v_ldexp_f32 v4, v4, v7
	v_cndmask_b32_e32 v4, 0, v4, vcc
	v_cmp_nlt_f32_e32 vcc, s25, v26
	v_cndmask_b32_e32 v26, v23, v4, vcc
	v_pk_add_f32 v[26:27], v[26:27], 1.0 op_sel_hi:[1,0]
	v_div_scale_f32 v4, s[30:31], v26, v26, v28
	v_rcp_f32_e32 v7, v4
	v_fma_f32 v8, -v4, v7, 1.0
	v_fmac_f32_e32 v7, v8, v7
	v_div_scale_f32 v8, vcc, v28, v26, v28
	v_mul_f32_e32 v30, v8, v7
	v_fma_f32 v31, -v4, v30, v8
	v_fmac_f32_e32 v30, v31, v7
	v_fma_f32 v4, -v4, v30, v8
	v_div_fmas_f32 v4, v4, v7, v30
	v_div_fixup_f32 v7, v4, v26, v28
	v_div_scale_f32 v4, s[30:31], v27, v27, v29
	v_rcp_f32_e32 v8, v4
	v_cvt_f16_f32_e32 v7, v7
	v_fma_f32 v26, -v4, v8, 1.0
	v_fmac_f32_e32 v8, v26, v8
	v_div_scale_f32 v26, vcc, v29, v27, v29
	v_mul_f32_e32 v28, v26, v8
	v_fma_f32 v30, -v4, v28, v26
	v_fmac_f32_e32 v28, v30, v8
	v_fma_f32 v4, -v4, v28, v26
	v_div_fmas_f32 v4, v4, v8, v28
	v_cvt_f32_f16_e32 v8, v5
	v_cvt_f32_f16_e32 v26, v9
	v_div_fixup_f32 v4, v4, v27, v29
	v_cvt_f32_f16_sdwa v5, v5 dst_sel:DWORD dst_unused:UNUSED_PAD src0_sel:WORD_1
	v_cvt_f16_f32_e32 v4, v4
	v_min_f32_e32 v27, v26, v19
	v_min_f32_e32 v26, v8, v20
	v_cvt_f32_f16_sdwa v8, v9 dst_sel:DWORD dst_unused:UNUSED_PAD src0_sel:WORD_1
	v_min_f32_e32 v5, v5, v20
	v_min_f32_e32 v8, v8, v19
	v_max_f32_e32 v9, v8, v21
	v_max_f32_e32 v8, v5, v22
	v_pk_add_f32 v[8:9], v[8:9], 1.0 op_sel_hi:[1,0]
	v_pk_mul_f32 v[8:9], v[26:27], v[8:9]
	v_pk_mul_f32 v[26:27], s[12:13], v[26:27] neg_lo:[0,1] neg_hi:[0,1]
	v_mul_f32_e32 v5, 0x3fb8aa3b, v27
	v_fma_f32 v28, v27, s7, -v5
	v_rndne_f32_e32 v29, v5
	v_fmac_f32_e32 v28, 0x32a5705f, v27
	v_sub_f32_e32 v5, v5, v29
	v_add_f32_e32 v5, v5, v28
	v_exp_f32_e32 v5, v5
	v_cvt_i32_f32_e32 v28, v29
	v_cmp_ngt_f32_e32 vcc, s15, v27
	v_ldexp_f32 v5, v5, v28
	v_cndmask_b32_e32 v5, 0, v5, vcc
	v_cmp_nlt_f32_e32 vcc, s25, v27
	v_cndmask_b32_e32 v27, v23, v5, vcc
	v_mul_f32_e32 v5, 0x3fb8aa3b, v26
	v_fma_f32 v28, v26, s7, -v5
	v_rndne_f32_e32 v29, v5
	v_fmac_f32_e32 v28, 0x32a5705f, v26
	v_sub_f32_e32 v5, v5, v29
	v_add_f32_e32 v5, v5, v28
	v_exp_f32_e32 v5, v5
	v_cvt_i32_f32_e32 v28, v29
	v_cmp_ngt_f32_e32 vcc, s15, v26
	v_ldexp_f32 v5, v5, v28
	v_cndmask_b32_e32 v5, 0, v5, vcc
	v_cmp_nlt_f32_e32 vcc, s25, v26
	v_cndmask_b32_e32 v26, v23, v5, vcc
	v_pk_add_f32 v[26:27], v[26:27], 1.0 op_sel_hi:[1,0]
	v_div_scale_f32 v5, s[30:31], v26, v26, v8
	v_rcp_f32_e32 v28, v5
	v_fma_f32 v29, -v5, v28, 1.0
	v_fmac_f32_e32 v28, v29, v28
	v_div_scale_f32 v29, vcc, v8, v26, v8
	v_mul_f32_e32 v30, v29, v28
	v_fma_f32 v31, -v5, v30, v29
	v_fmac_f32_e32 v30, v31, v28
	v_fma_f32 v5, -v5, v30, v29
	v_div_fmas_f32 v5, v5, v28, v30
	v_div_fixup_f32 v8, v5, v26, v8
	v_div_scale_f32 v5, s[30:31], v27, v27, v9
	v_rcp_f32_e32 v26, v5
	v_cvt_f16_f32_e32 v8, v8
	v_fma_f32 v28, -v5, v26, 1.0
	v_fmac_f32_e32 v26, v28, v26
	v_div_scale_f32 v28, vcc, v9, v27, v9
	v_mul_f32_e32 v29, v28, v26
	v_fma_f32 v30, -v5, v29, v28
	v_fmac_f32_e32 v29, v30, v26
	v_fma_f32 v5, -v5, v29, v28
	v_div_fmas_f32 v5, v5, v26, v29
	v_div_fixup_f32 v5, v5, v27, v9
	v_lshlrev_b64 v[26:27], 3, v[10:11]
	v_add_co_u32_e32 v26, vcc, s34, v26
	v_cvt_f16_f32_e32 v5, v5
	v_addc_co_u32_e32 v27, vcc, v24, v27, vcc
	v_add_co_u32_e32 v14, vcc, s34, v14
	v_addc_co_u32_e32 v15, vcc, v24, v15, vcc
	v_cmp_eq_u32_e32 vcc, 0, v25
	v_pack_b32_f16 v7, v7, v8
	v_pack_b32_f16 v5, v4, v5
	;; [unrolled: 1-line block ×3, first 2 shown]
	s_or_b64 s[26:27], vcc, s[26:27]
	global_store_dwordx2 v[26:27], v[6:7], off
	global_store_dwordx2 v[14:15], v[4:5], off
	s_andn2_b64 exec, exec, s[26:27]
	s_cbranch_execnz .LBB57_22
; %bb.23:
	s_or_b64 exec, exec, s[26:27]
	v_cmp_ne_u32_e32 vcc, v16, v17
	v_pk_mov_b32 v[2:3], s[6:7], s[6:7] op_sel:[0,1]
	s_andn2_b64 s[0:1], s[0:1], exec
	s_and_b64 s[6:7], vcc, exec
	v_add_u32_e32 v6, v0, v17
	v_pk_mov_b32 v[4:5], s[14:15], s[14:15] op_sel:[0,1]
	v_pk_mov_b32 v[8:9], s[24:25], s[24:25] op_sel:[0,1]
	s_or_b64 s[0:1], s[0:1], s[6:7]
.LBB57_24:
	s_or_b64 exec, exec, s[2:3]
	s_and_b64 exec, exec, s[0:1]
	s_cbranch_execz .LBB57_27
; %bb.25:
	s_xor_b32 s0, s14, 0x80000000
	v_mov_b32_e32 v7, 0
	s_add_u32 s1, s8, s20
	v_lshlrev_b64 v[10:11], 3, v[6:7]
	s_addc_u32 s2, s9, s21
	v_mov_b32_e32 v5, s2
	v_add_co_u32_e32 v10, vcc, s1, v10
	v_addc_co_u32_e32 v5, vcc, v5, v11, vcc
	s_lshl_b32 s12, s28, 3
	v_add_co_u32_e32 v10, vcc, 4, v10
	s_add_u32 s1, s10, s18
	v_addc_co_u32_e32 v11, vcc, 0, v5, vcc
	v_lshlrev_b64 v[12:13], 4, v[6:7]
	s_addc_u32 s2, s11, s19
	v_mov_b32_e32 v5, s2
	v_add_co_u32_e32 v7, vcc, s1, v12
	v_addc_co_u32_e32 v5, vcc, v5, v13, vcc
	v_mov_b32_e32 v1, s14
	v_mov_b32_e32 v3, s0
	s_mov_b32 s0, 0
	v_add_co_u32_e32 v12, vcc, 14, v7
	v_mov_b32_e32 v9, s13
	v_addc_co_u32_e32 v13, vcc, 0, v5, vcc
	s_lshl_b32 s10, s28, 4
	s_mov_b64 s[8:9], 0
	v_max_f32_e32 v1, v1, v1
	v_max_f32_e32 v7, v4, v4
	;; [unrolled: 1-line block ×4, first 2 shown]
	s_mov_b32 s11, 0x3fb8aa3b
	s_mov_b32 s15, 0xc2ce8ed0
	s_mov_b32 s18, 0x42b17218
	v_mov_b32_e32 v16, 0x7f800000
	v_mov_b32_e32 v17, s0
	;; [unrolled: 1-line block ×3, first 2 shown]
.LBB57_26:                              ; =>This Inner Loop Header: Depth=1
	global_load_dwordx4 v[2:5], v[12:13], off offset:-14
	v_add_co_u32_e32 v12, vcc, s10, v12
	v_add_u32_e32 v6, s28, v6
	v_addc_co_u32_e32 v13, vcc, v13, v18, vcc
	v_cmp_le_u32_e32 vcc, s17, v6
	s_or_b64 s[8:9], vcc, s[8:9]
	s_waitcnt vmcnt(0)
	v_cvt_f32_f16_e32 v19, v2
	v_cvt_f32_f16_e32 v20, v3
	v_cvt_f32_f16_sdwa v21, v3 dst_sel:DWORD dst_unused:UNUSED_PAD src0_sel:WORD_1
	v_cvt_f32_f16_sdwa v22, v2 dst_sel:DWORD dst_unused:UNUSED_PAD src0_sel:WORD_1
	v_cvt_f32_f16_e32 v23, v4
	v_cvt_f32_f16_e32 v24, v5
	v_cvt_f32_f16_sdwa v25, v5 dst_sel:DWORD dst_unused:UNUSED_PAD src0_sel:WORD_1
	v_cvt_f32_f16_sdwa v26, v4 dst_sel:DWORD dst_unused:UNUSED_PAD src0_sel:WORD_1
	v_min_f32_e32 v3, v20, v1
	v_min_f32_e32 v2, v19, v7
	;; [unrolled: 1-line block ×8, first 2 shown]
	v_max_f32_e32 v21, v20, v14
	v_max_f32_e32 v20, v19, v15
	v_pk_mul_f32 v[22:23], v[8:9], v[2:3] neg_lo:[0,1] neg_hi:[0,1]
	v_max_f32_e32 v25, v25, v14
	v_max_f32_e32 v24, v24, v15
	v_pk_mul_f32 v[26:27], v[8:9], v[4:5] neg_lo:[0,1] neg_hi:[0,1]
	v_pk_add_f32 v[20:21], v[20:21], 1.0 op_sel_hi:[1,0]
	v_mul_f32_e32 v19, 0x3fb8aa3b, v23
	v_mul_f32_e32 v28, 0x3fb8aa3b, v22
	v_pk_add_f32 v[24:25], v[24:25], 1.0 op_sel_hi:[1,0]
	v_mul_f32_e32 v29, 0x3fb8aa3b, v27
	v_pk_mul_f32 v[2:3], v[2:3], v[20:21]
	v_fma_f32 v20, v23, s11, -v19
	v_rndne_f32_e32 v21, v19
	v_fma_f32 v31, v22, s11, -v28
	v_rndne_f32_e32 v32, v28
	v_mul_f32_e32 v30, 0x3fb8aa3b, v26
	v_pk_mul_f32 v[4:5], v[4:5], v[24:25]
	v_fma_f32 v24, v27, s11, -v29
	v_rndne_f32_e32 v25, v29
	v_fmac_f32_e32 v20, 0x32a5705f, v23
	v_sub_f32_e32 v19, v19, v21
	v_fmac_f32_e32 v31, 0x32a5705f, v22
	v_sub_f32_e32 v28, v28, v32
	v_fma_f32 v33, v26, s11, -v30
	v_rndne_f32_e32 v34, v30
	v_fmac_f32_e32 v24, 0x32a5705f, v27
	v_sub_f32_e32 v29, v29, v25
	v_add_f32_e32 v19, v19, v20
	v_add_f32_e32 v20, v28, v31
	v_cvt_i32_f32_e32 v21, v21
	v_cvt_i32_f32_e32 v32, v32
	v_fmac_f32_e32 v33, 0x32a5705f, v26
	v_sub_f32_e32 v30, v30, v34
	v_add_f32_e32 v24, v29, v24
	v_exp_f32_e32 v19, v19
	v_exp_f32_e32 v20, v20
	v_cvt_i32_f32_e32 v25, v25
	v_add_f32_e32 v28, v30, v33
	v_exp_f32_e32 v24, v24
	v_cvt_i32_f32_e32 v34, v34
	v_exp_f32_e32 v28, v28
	v_ldexp_f32 v19, v19, v21
	v_ldexp_f32 v20, v20, v32
	v_cmp_ngt_f32_e32 vcc, s15, v22
	v_cmp_ngt_f32_e64 s[6:7], s15, v23
	v_ldexp_f32 v21, v24, v25
	v_cmp_ngt_f32_e64 s[0:1], s15, v27
	v_cndmask_b32_e64 v19, 0, v19, s[6:7]
	v_cndmask_b32_e32 v20, 0, v20, vcc
	v_cmp_nlt_f32_e32 vcc, s18, v22
	v_cmp_nlt_f32_e64 s[6:7], s18, v23
	v_ldexp_f32 v24, v28, v34
	v_cmp_ngt_f32_e64 s[2:3], s15, v26
	v_cndmask_b32_e64 v22, 0, v21, s[0:1]
	v_cndmask_b32_e64 v21, v16, v19, s[6:7]
	v_cndmask_b32_e32 v20, v16, v20, vcc
	v_cmp_nlt_f32_e64 s[0:1], s18, v27
	v_cndmask_b32_e64 v24, 0, v24, s[2:3]
	v_cmp_nlt_f32_e64 s[2:3], s18, v26
	v_pk_add_f32 v[20:21], v[20:21], 1.0 op_sel_hi:[1,0]
	v_cndmask_b32_e64 v23, v16, v22, s[0:1]
	v_cndmask_b32_e64 v22, v16, v24, s[2:3]
	v_div_scale_f32 v19, s[0:1], v20, v20, v2
	v_pk_add_f32 v[22:23], v[22:23], 1.0 op_sel_hi:[1,0]
	v_div_scale_f32 v25, s[0:1], v21, v21, v3
	v_rcp_f32_e32 v31, v19
	v_div_scale_f32 v27, s[2:3], v22, v22, v4
	v_rcp_f32_e32 v32, v25
	;; [unrolled: 2-line block ×3, first 2 shown]
	v_rcp_f32_e32 v34, v29
	v_fma_f32 v35, -v19, v31, 1.0
	v_div_scale_f32 v24, vcc, v2, v20, v2
	v_fma_f32 v36, -v25, v32, 1.0
	v_fmac_f32_e32 v31, v35, v31
	v_div_scale_f32 v26, s[0:1], v3, v21, v3
	v_fma_f32 v37, -v27, v33, 1.0
	v_fmac_f32_e32 v32, v36, v32
	v_mul_f32_e32 v35, v24, v31
	v_div_scale_f32 v28, s[2:3], v4, v22, v4
	v_fma_f32 v38, -v29, v34, 1.0
	v_fmac_f32_e32 v33, v37, v33
	v_mul_f32_e32 v36, v26, v32
	v_fma_f32 v39, -v19, v35, v24
	v_div_scale_f32 v30, s[6:7], v5, v23, v5
	v_fmac_f32_e32 v34, v38, v34
	v_mul_f32_e32 v37, v28, v33
	v_fma_f32 v40, -v25, v36, v26
	v_fmac_f32_e32 v35, v39, v31
	v_mul_f32_e32 v38, v30, v34
	v_fma_f32 v41, -v27, v37, v28
	v_fmac_f32_e32 v36, v40, v32
	v_fma_f32 v19, -v19, v35, v24
	v_fma_f32 v42, -v29, v38, v30
	v_fmac_f32_e32 v37, v41, v33
	v_fma_f32 v24, -v25, v36, v26
	v_div_fmas_f32 v19, v19, v31, v35
	s_mov_b64 vcc, s[0:1]
	v_fmac_f32_e32 v38, v42, v34
	v_fma_f32 v25, -v27, v37, v28
	v_div_fixup_f32 v2, v19, v20, v2
	v_div_fmas_f32 v19, v24, v32, v36
	s_mov_b64 vcc, s[2:3]
	v_fma_f32 v26, -v29, v38, v30
	v_div_fixup_f32 v3, v19, v21, v3
	v_div_fmas_f32 v19, v25, v33, v37
	s_mov_b64 vcc, s[6:7]
	v_div_fixup_f32 v4, v19, v22, v4
	v_div_fmas_f32 v19, v26, v34, v38
	v_div_fixup_f32 v5, v19, v23, v5
	v_cvt_f16_f32_e32 v2, v2
	v_cvt_f16_f32_e32 v3, v3
	;; [unrolled: 1-line block ×4, first 2 shown]
	v_pack_b32_f16 v2, v2, v3
	v_pack_b32_f16 v3, v4, v5
	global_store_dwordx2 v[10:11], v[2:3], off offset:-4
	v_add_co_u32_e32 v10, vcc, s12, v10
	v_addc_co_u32_e32 v11, vcc, v11, v17, vcc
	s_andn2_b64 exec, exec, s[8:9]
	s_cbranch_execnz .LBB57_26
.LBB57_27:
	s_or_b64 exec, exec, s[22:23]
	s_and_b32 s0, s16, 0x7ffffffc
	v_add_u32_e32 v2, s0, v0
	v_cmp_gt_i32_e32 vcc, s16, v2
	s_and_saveexec_b64 s[0:1], vcc
	s_cbranch_execz .LBB57_30
; %bb.28:
	s_load_dword s2, s[4:5], 0x2c
	s_lshl_b32 s3, s16, 1
	s_and_b32 s3, s3, -8
	s_mov_b64 s[0:1], 0
	v_lshl_add_u32 v0, v0, 1, s3
	s_waitcnt lgkmcnt(0)
	s_and_b32 s2, s2, 0xffff
	s_lshl_b32 s3, s2, 1
	v_mov_b32_e32 v4, s36
	v_max_f32_e64 v5, s14, s14
	v_max_f32_e64 v6, -s14, -s14
	s_mov_b32 s4, 0x3fb8aa3b
	s_mov_b32 s5, 0xc2ce8ed0
	;; [unrolled: 1-line block ×3, first 2 shown]
	v_mov_b32_e32 v7, 0x7f800000
	v_mov_b32_e32 v8, s35
.LBB57_29:                              ; =>This Inner Loop Header: Depth=1
	v_ashrrev_i32_e32 v1, 31, v0
	v_lshlrev_b64 v[10:11], 1, v[0:1]
	v_add_co_u32_e32 v10, vcc, s33, v10
	v_addc_co_u32_e32 v11, vcc, v4, v11, vcc
	global_load_dword v1, v[10:11], off
	v_ashrrev_i32_e32 v3, 31, v2
	v_add_u32_e32 v0, s3, v0
	s_waitcnt vmcnt(0)
	v_cvt_f32_f16_e32 v9, v1
	v_cvt_f32_f16_sdwa v1, v1 dst_sel:DWORD dst_unused:UNUSED_PAD src0_sel:WORD_1
	v_min_f32_e32 v9, v9, v5
	v_mul_f32_e64 v13, -v9, s13
	v_mul_f32_e32 v10, 0x3fb8aa3b, v13
	v_fma_f32 v11, v13, s4, -v10
	v_rndne_f32_e32 v12, v10
	v_fmac_f32_e32 v11, 0x32a5705f, v13
	v_sub_f32_e32 v10, v10, v12
	v_add_f32_e32 v10, v10, v11
	v_cvt_i32_f32_e32 v14, v12
	v_exp_f32_e32 v15, v10
	v_min_f32_e32 v1, v1, v5
	v_max_f32_e32 v12, v1, v6
	v_cmp_ngt_f32_e32 vcc, s5, v13
	v_ldexp_f32 v1, v15, v14
	v_cndmask_b32_e32 v1, 0, v1, vcc
	v_cmp_nlt_f32_e32 vcc, s6, v13
	v_cndmask_b32_e32 v13, v7, v1, vcc
	v_pk_add_f32 v[12:13], v[12:13], 1.0 op_sel_hi:[1,0]
	v_mul_f32_e32 v1, v9, v12
	v_lshlrev_b64 v[10:11], 1, v[2:3]
	v_div_scale_f32 v3, s[8:9], v13, v13, v1
	v_rcp_f32_e32 v9, v3
	v_div_scale_f32 v12, vcc, v1, v13, v1
	v_add_u32_e32 v2, s2, v2
	v_fma_f32 v14, -v3, v9, 1.0
	v_fmac_f32_e32 v9, v14, v9
	v_mul_f32_e32 v14, v12, v9
	v_fma_f32 v15, -v3, v14, v12
	v_fmac_f32_e32 v14, v15, v9
	v_fma_f32 v3, -v3, v14, v12
	v_div_fmas_f32 v3, v3, v9, v14
	v_div_fixup_f32 v1, v3, v13, v1
	v_cvt_f16_f32_e32 v1, v1
	v_add_co_u32_e32 v10, vcc, s34, v10
	v_addc_co_u32_e32 v11, vcc, v8, v11, vcc
	v_cmp_le_i32_e32 vcc, s16, v2
	s_or_b64 s[0:1], vcc, s[0:1]
	global_store_short v[10:11], v1, off
	s_andn2_b64 exec, exec, s[0:1]
	s_cbranch_execnz .LBB57_29
.LBB57_30:
	s_endpgm
	.section	.rodata,"a",@progbits
	.p2align	6, 0x0
	.amdhsa_kernel _ZN4vllm24swigluoai_and_mul_kernelIN3c104HalfETnPFT_RKS3_S5_ffEXadL_ZNS_17swigluoai_and_mulIS2_EES3_S5_S5_ffEEEEvPS3_PS4_iff
		.amdhsa_group_segment_fixed_size 0
		.amdhsa_private_segment_fixed_size 0
		.amdhsa_kernarg_size 288
		.amdhsa_user_sgpr_count 6
		.amdhsa_user_sgpr_private_segment_buffer 1
		.amdhsa_user_sgpr_dispatch_ptr 0
		.amdhsa_user_sgpr_queue_ptr 0
		.amdhsa_user_sgpr_kernarg_segment_ptr 1
		.amdhsa_user_sgpr_dispatch_id 0
		.amdhsa_user_sgpr_flat_scratch_init 0
		.amdhsa_user_sgpr_kernarg_preload_length 0
		.amdhsa_user_sgpr_kernarg_preload_offset 0
		.amdhsa_user_sgpr_private_segment_size 0
		.amdhsa_uses_dynamic_stack 0
		.amdhsa_system_sgpr_private_segment_wavefront_offset 0
		.amdhsa_system_sgpr_workgroup_id_x 1
		.amdhsa_system_sgpr_workgroup_id_y 0
		.amdhsa_system_sgpr_workgroup_id_z 0
		.amdhsa_system_sgpr_workgroup_info 0
		.amdhsa_system_vgpr_workitem_id 0
		.amdhsa_next_free_vgpr 58
		.amdhsa_next_free_sgpr 42
		.amdhsa_accum_offset 60
		.amdhsa_reserve_vcc 1
		.amdhsa_reserve_flat_scratch 0
		.amdhsa_float_round_mode_32 0
		.amdhsa_float_round_mode_16_64 0
		.amdhsa_float_denorm_mode_32 3
		.amdhsa_float_denorm_mode_16_64 3
		.amdhsa_dx10_clamp 1
		.amdhsa_ieee_mode 1
		.amdhsa_fp16_overflow 0
		.amdhsa_tg_split 0
		.amdhsa_exception_fp_ieee_invalid_op 0
		.amdhsa_exception_fp_denorm_src 0
		.amdhsa_exception_fp_ieee_div_zero 0
		.amdhsa_exception_fp_ieee_overflow 0
		.amdhsa_exception_fp_ieee_underflow 0
		.amdhsa_exception_fp_ieee_inexact 0
		.amdhsa_exception_int_div_zero 0
	.end_amdhsa_kernel
	.section	.text._ZN4vllm24swigluoai_and_mul_kernelIN3c104HalfETnPFT_RKS3_S5_ffEXadL_ZNS_17swigluoai_and_mulIS2_EES3_S5_S5_ffEEEEvPS3_PS4_iff,"axG",@progbits,_ZN4vllm24swigluoai_and_mul_kernelIN3c104HalfETnPFT_RKS3_S5_ffEXadL_ZNS_17swigluoai_and_mulIS2_EES3_S5_S5_ffEEEEvPS3_PS4_iff,comdat
.Lfunc_end57:
	.size	_ZN4vllm24swigluoai_and_mul_kernelIN3c104HalfETnPFT_RKS3_S5_ffEXadL_ZNS_17swigluoai_and_mulIS2_EES3_S5_S5_ffEEEEvPS3_PS4_iff, .Lfunc_end57-_ZN4vllm24swigluoai_and_mul_kernelIN3c104HalfETnPFT_RKS3_S5_ffEXadL_ZNS_17swigluoai_and_mulIS2_EES3_S5_S5_ffEEEEvPS3_PS4_iff
                                        ; -- End function
	.section	.AMDGPU.csdata,"",@progbits
; Kernel info:
; codeLenInByte = 6372
; NumSgprs: 46
; NumVgprs: 58
; NumAgprs: 0
; TotalNumVgprs: 58
; ScratchSize: 0
; MemoryBound: 0
; FloatMode: 240
; IeeeMode: 1
; LDSByteSize: 0 bytes/workgroup (compile time only)
; SGPRBlocks: 5
; VGPRBlocks: 7
; NumSGPRsForWavesPerEU: 46
; NumVGPRsForWavesPerEU: 58
; AccumOffset: 60
; Occupancy: 8
; WaveLimiterHint : 0
; COMPUTE_PGM_RSRC2:SCRATCH_EN: 0
; COMPUTE_PGM_RSRC2:USER_SGPR: 6
; COMPUTE_PGM_RSRC2:TRAP_HANDLER: 0
; COMPUTE_PGM_RSRC2:TGID_X_EN: 1
; COMPUTE_PGM_RSRC2:TGID_Y_EN: 0
; COMPUTE_PGM_RSRC2:TGID_Z_EN: 0
; COMPUTE_PGM_RSRC2:TIDIG_COMP_CNT: 0
; COMPUTE_PGM_RSRC3_GFX90A:ACCUM_OFFSET: 14
; COMPUTE_PGM_RSRC3_GFX90A:TG_SPLIT: 0
	.section	.text._ZN4vllm24swigluoai_and_mul_kernelIN3c108BFloat16ETnPFT_RKS3_S5_ffEXadL_ZNS_17swigluoai_and_mulIS2_EES3_S5_S5_ffEEEEvPS3_PS4_iff,"axG",@progbits,_ZN4vllm24swigluoai_and_mul_kernelIN3c108BFloat16ETnPFT_RKS3_S5_ffEXadL_ZNS_17swigluoai_and_mulIS2_EES3_S5_S5_ffEEEEvPS3_PS4_iff,comdat
	.protected	_ZN4vllm24swigluoai_and_mul_kernelIN3c108BFloat16ETnPFT_RKS3_S5_ffEXadL_ZNS_17swigluoai_and_mulIS2_EES3_S5_S5_ffEEEEvPS3_PS4_iff ; -- Begin function _ZN4vllm24swigluoai_and_mul_kernelIN3c108BFloat16ETnPFT_RKS3_S5_ffEXadL_ZNS_17swigluoai_and_mulIS2_EES3_S5_S5_ffEEEEvPS3_PS4_iff
	.globl	_ZN4vllm24swigluoai_and_mul_kernelIN3c108BFloat16ETnPFT_RKS3_S5_ffEXadL_ZNS_17swigluoai_and_mulIS2_EES3_S5_S5_ffEEEEvPS3_PS4_iff
	.p2align	8
	.type	_ZN4vllm24swigluoai_and_mul_kernelIN3c108BFloat16ETnPFT_RKS3_S5_ffEXadL_ZNS_17swigluoai_and_mulIS2_EES3_S5_S5_ffEEEEvPS3_PS4_iff,@function
_ZN4vllm24swigluoai_and_mul_kernelIN3c108BFloat16ETnPFT_RKS3_S5_ffEXadL_ZNS_17swigluoai_and_mulIS2_EES3_S5_S5_ffEEEEvPS3_PS4_iff: ; @_ZN4vllm24swigluoai_and_mul_kernelIN3c108BFloat16ETnPFT_RKS3_S5_ffEXadL_ZNS_17swigluoai_and_mulIS2_EES3_S5_S5_ffEEEEvPS3_PS4_iff
; %bb.0:
	s_load_dwordx8 s[8:15], s[4:5], 0x0
	s_mov_b32 s7, 0
	s_waitcnt lgkmcnt(0)
	s_ashr_i32 s17, s12, 31
	s_mul_hi_u32 s0, s12, s6
	s_mul_i32 s1, s17, s6
	s_add_i32 s1, s0, s1
	s_mul_i32 s0, s12, s6
	s_lshl_b64 s[20:21], s[0:1], 1
	s_lshl_b64 s[18:19], s[0:1], 2
	s_mov_b32 s16, s12
	s_add_u32 s12, s10, s18
	s_addc_u32 s35, s11, s19
	s_add_u32 s33, s8, s20
	s_addc_u32 s34, s9, s21
	s_and_b32 s6, s12, 15
	s_cmp_lg_u64 s[6:7], 0
	s_cselect_b64 s[2:3], -1, 0
	s_mov_b64 s[0:1], 0
	s_and_b64 vcc, exec, s[2:3]
	s_cbranch_vccz .LBB58_3
; %bb.1:
	s_andn2_b64 vcc, exec, s[2:3]
	s_cbranch_vccz .LBB58_4
.LBB58_2:
	s_andn2_b64 vcc, exec, s[0:1]
	s_cbranch_vccz .LBB58_17
	s_branch .LBB58_23
.LBB58_3:
	s_and_b32 s6, s33, 7
	s_cmp_lg_u64 s[6:7], 0
	s_cselect_b64 s[0:1], -1, 0
	s_cmp_lt_i32 s16, 4
	s_cselect_b64 s[2:3], -1, 0
	s_or_b64 s[2:3], s[2:3], s[0:1]
	s_mov_b64 s[0:1], -1
	s_andn2_b64 vcc, exec, s[2:3]
	s_cbranch_vccnz .LBB58_2
.LBB58_4:
	v_cmp_gt_i32_e32 vcc, s16, v0
	s_and_saveexec_b64 s[22:23], vcc
	s_cbranch_execz .LBB58_16
; %bb.5:
	s_load_dword s0, s[4:5], 0x2c
	v_mov_b32_e32 v1, s17
	v_mov_b32_e32 v3, 0
	s_mov_b32 s36, 0
	v_mov_b32_e32 v2, v0
	s_waitcnt lgkmcnt(0)
	s_and_b32 s15, s0, 0xffff
	v_add_co_u32_e32 v6, vcc, s15, v0
	v_addc_co_u32_e64 v7, s[0:1], 0, 0, vcc
	v_cmp_lt_i64_e32 vcc, s[16:17], v[6:7]
	v_cndmask_b32_e32 v5, v1, v7, vcc
	v_mov_b32_e32 v1, s16
	v_cndmask_b32_e32 v1, v1, v6, vcc
	v_cmp_gt_i64_e32 vcc, s[16:17], v[6:7]
	v_cndmask_b32_e64 v4, 0, 1, vcc
	v_add_co_u32_e32 v6, vcc, v6, v4
	v_addc_co_u32_e32 v7, vcc, 0, v7, vcc
	v_sub_co_u32_e32 v1, vcc, v1, v6
	v_subb_co_u32_e32 v7, vcc, v5, v7, vcc
	v_mov_b32_e32 v6, v3
	v_cmp_ne_u64_e32 vcc, 0, v[6:7]
                                        ; implicit-def: $vgpr8_vgpr9
	s_and_saveexec_b64 s[0:1], vcc
	s_xor_b64 s[2:3], exec, s[0:1]
	s_cbranch_execz .LBB58_7
; %bb.6:
	v_cvt_f32_u32_e32 v5, s15
	v_mov_b32_e32 v6, 0x4f800000
	s_sub_u32 s0, 0, s15
	s_subb_u32 s1, 0, 0
	v_mac_f32_e32 v5, 0, v6
	v_rcp_f32_e32 v5, v5
	v_mul_f32_e32 v5, 0x5f7ffffc, v5
	v_mul_f32_e32 v6, 0x2f800000, v5
	v_trunc_f32_e32 v6, v6
	v_madmk_f32 v5, v6, 0xcf800000, v5
	v_cvt_u32_f32_e32 v6, v6
	v_cvt_u32_f32_e32 v5, v5
	v_mul_lo_u32 v8, s0, v6
	v_mul_hi_u32 v10, s0, v5
	v_mul_lo_u32 v9, s1, v5
	v_add_u32_e32 v8, v10, v8
	v_mul_lo_u32 v11, s0, v5
	v_add_u32_e32 v8, v8, v9
	v_mul_hi_u32 v10, v5, v11
	v_mul_lo_u32 v12, v5, v8
	v_mul_hi_u32 v9, v5, v8
	v_add_co_u32_e32 v10, vcc, v10, v12
	v_addc_co_u32_e32 v9, vcc, 0, v9, vcc
	v_mul_hi_u32 v13, v6, v11
	v_mul_lo_u32 v11, v6, v11
	v_add_co_u32_e32 v10, vcc, v10, v11
	v_mul_hi_u32 v12, v6, v8
	v_addc_co_u32_e32 v9, vcc, v9, v13, vcc
	v_addc_co_u32_e32 v10, vcc, 0, v12, vcc
	v_mul_lo_u32 v8, v6, v8
	v_add_co_u32_e32 v8, vcc, v9, v8
	v_addc_co_u32_e32 v9, vcc, 0, v10, vcc
	v_add_co_u32_e32 v5, vcc, v5, v8
	v_addc_co_u32_e32 v6, vcc, v6, v9, vcc
	v_mul_lo_u32 v8, s0, v6
	v_mul_hi_u32 v9, s0, v5
	v_add_u32_e32 v8, v9, v8
	v_mul_lo_u32 v9, s1, v5
	v_add_u32_e32 v8, v8, v9
	v_mul_lo_u32 v10, s0, v5
	v_mul_hi_u32 v11, v6, v10
	v_mul_lo_u32 v12, v6, v10
	v_mul_lo_u32 v14, v5, v8
	v_mul_hi_u32 v10, v5, v10
	v_mul_hi_u32 v13, v5, v8
	v_add_co_u32_e32 v10, vcc, v10, v14
	v_addc_co_u32_e32 v13, vcc, 0, v13, vcc
	v_add_co_u32_e32 v10, vcc, v10, v12
	v_mul_hi_u32 v9, v6, v8
	v_addc_co_u32_e32 v10, vcc, v13, v11, vcc
	v_addc_co_u32_e32 v9, vcc, 0, v9, vcc
	v_mul_lo_u32 v8, v6, v8
	v_add_co_u32_e32 v8, vcc, v10, v8
	v_addc_co_u32_e32 v9, vcc, 0, v9, vcc
	v_add_co_u32_e32 v5, vcc, v5, v8
	v_addc_co_u32_e32 v6, vcc, v6, v9, vcc
	v_mad_u64_u32 v[8:9], s[0:1], v1, v6, 0
	v_mul_hi_u32 v10, v1, v5
	v_add_co_u32_e32 v12, vcc, v10, v8
	v_addc_co_u32_e32 v13, vcc, 0, v9, vcc
	v_mad_u64_u32 v[10:11], s[0:1], v7, v5, 0
	v_add_co_u32_e32 v5, vcc, v12, v10
	v_mad_u64_u32 v[8:9], s[0:1], v7, v6, 0
	v_addc_co_u32_e32 v5, vcc, v13, v11, vcc
	v_addc_co_u32_e32 v6, vcc, 0, v9, vcc
	v_add_co_u32_e32 v5, vcc, v5, v8
	v_mad_u64_u32 v[8:9], s[0:1], s15, v5, 0
	v_addc_co_u32_e32 v12, vcc, 0, v6, vcc
	v_mov_b32_e32 v6, v9
	v_mad_u64_u32 v[10:11], s[0:1], s15, v12, v[6:7]
	v_sub_co_u32_e32 v1, vcc, v1, v8
	v_subb_co_u32_e32 v6, vcc, v7, v10, vcc
	v_subrev_co_u32_e32 v7, vcc, s15, v1
	v_subbrev_co_u32_e32 v8, vcc, 0, v6, vcc
	v_cmp_le_u32_e32 vcc, s15, v7
	v_cndmask_b32_e64 v7, 0, -1, vcc
	v_cmp_eq_u32_e32 vcc, 0, v8
	v_cndmask_b32_e32 v7, -1, v7, vcc
	v_add_co_u32_e32 v8, vcc, 2, v5
	v_addc_co_u32_e32 v9, vcc, 0, v12, vcc
	v_add_co_u32_e32 v10, vcc, 1, v5
	v_cmp_le_u32_e64 s[0:1], s15, v1
	v_addc_co_u32_e32 v11, vcc, 0, v12, vcc
	v_cndmask_b32_e64 v1, 0, -1, s[0:1]
	v_cmp_eq_u32_e64 s[0:1], 0, v6
	v_cmp_ne_u32_e32 vcc, 0, v7
	v_cndmask_b32_e64 v1, -1, v1, s[0:1]
	v_cndmask_b32_e32 v7, v11, v9, vcc
	v_cmp_ne_u32_e64 s[0:1], 0, v1
	v_cndmask_b32_e32 v1, v10, v8, vcc
	v_cndmask_b32_e64 v9, v12, v7, s[0:1]
	v_cndmask_b32_e64 v8, v5, v1, s[0:1]
                                        ; implicit-def: $vgpr1
.LBB58_7:
	s_andn2_saveexec_b64 s[0:1], s[2:3]
	s_cbranch_execz .LBB58_9
; %bb.8:
	v_cvt_f32_u32_e32 v5, s15
	s_sub_i32 s2, 0, s15
	v_mov_b32_e32 v9, 0
	v_rcp_iflag_f32_e32 v5, v5
	v_mul_f32_e32 v5, 0x4f7ffffe, v5
	v_cvt_u32_f32_e32 v5, v5
	v_mul_lo_u32 v6, s2, v5
	v_mul_hi_u32 v6, v5, v6
	v_add_u32_e32 v5, v5, v6
	v_mul_hi_u32 v5, v1, v5
	v_mul_lo_u32 v6, v5, s15
	v_sub_u32_e32 v1, v1, v6
	v_add_u32_e32 v7, 1, v5
	v_subrev_u32_e32 v6, s15, v1
	v_cmp_le_u32_e32 vcc, s15, v1
	v_cndmask_b32_e32 v1, v1, v6, vcc
	v_cndmask_b32_e32 v5, v5, v7, vcc
	v_add_u32_e32 v6, 1, v5
	v_cmp_le_u32_e32 vcc, s15, v1
	v_cndmask_b32_e32 v8, v5, v6, vcc
.LBB58_9:
	s_or_b64 exec, exec, s[0:1]
	v_add_co_u32_e32 v1, vcc, v8, v4
	v_addc_co_u32_e32 v4, vcc, 0, v9, vcc
	v_add_co_u32_e32 v12, vcc, 1, v1
	v_addc_co_u32_e32 v13, vcc, 0, v4, vcc
	v_cmp_lt_u64_e32 vcc, 3, v[12:13]
	v_cmp_eq_u16_e64 s[0:1], s15, 1
	s_and_b64 s[2:3], vcc, s[0:1]
	s_mov_b64 s[0:1], -1
	s_and_saveexec_b64 s[24:25], s[2:3]
	s_cbranch_execz .LBB58_13
; %bb.10:
	v_lshlrev_b32_e32 v1, 1, v2
	v_mad_u64_u32 v[8:9], s[0:1], s15, 3, v[2:3]
	v_mad_u64_u32 v[6:7], s[0:1], s15, 2, v[2:3]
	;; [unrolled: 1-line block ×3, first 2 shown]
	s_xor_b32 s6, s14, 0x80000000
	v_mov_b32_e32 v10, s34
	v_add_co_u32_e32 v16, vcc, s33, v1
	v_and_b32_e32 v14, -4, v12
	v_mov_b32_e32 v15, v13
	s_mov_b32 s0, s14
	s_mov_b32 s1, s14
	;; [unrolled: 1-line block ×8, first 2 shown]
	v_addc_co_u32_e32 v17, vcc, 0, v10, vcc
	v_pk_mov_b32 v[10:11], v[8:9], v[8:9] op_sel:[0,1]
	s_mov_b32 s26, s13
	s_mov_b32 s27, s13
	;; [unrolled: 1-line block ×4, first 2 shown]
	s_lshl_b32 s37, s15, 3
	s_mov_b64 s[30:31], 0
	v_mov_b32_e32 v1, s35
	v_max_f32_e64 v36, s1, s1
	v_max_f32_e64 v37, s0, s0
	;; [unrolled: 1-line block ×8, first 2 shown]
	s_mov_b32 s38, 0x3fb8aa3b
	s_mov_b32 s39, 0xc2ce8ed0
	;; [unrolled: 1-line block ×3, first 2 shown]
	v_mov_b32_e32 v44, 0x7f800000
	s_movk_i32 s41, 0x7fff
	v_mov_b32_e32 v45, 0x7fc0
	s_mov_b32 s42, 0x5040100
	v_mov_b32_e32 v46, s43
	v_pk_mov_b32 v[18:19], v[14:15], v[14:15] op_sel:[0,1]
	v_pk_mov_b32 v[8:9], v[6:7], v[6:7] op_sel:[0,1]
	;; [unrolled: 1-line block ×4, first 2 shown]
.LBB58_11:                              ; =>This Inner Loop Header: Depth=1
	v_lshlrev_b64 v[26:27], 1, v[10:11]
	v_lshlrev_b64 v[34:35], 2, v[10:11]
	v_add_co_u32_e32 v10, vcc, 4, v10
	v_addc_co_u32_e32 v11, vcc, 0, v11, vcc
	v_lshlrev_b64 v[24:25], 1, v[8:9]
	v_lshlrev_b64 v[32:33], 2, v[8:9]
	v_add_co_u32_e32 v8, vcc, 4, v8
	v_addc_co_u32_e32 v9, vcc, 0, v9, vcc
	;; [unrolled: 4-line block ×4, first 2 shown]
	v_add_co_u32_e32 v18, vcc, -4, v18
	v_addc_co_u32_e32 v19, vcc, -1, v19, vcc
	v_add_co_u32_e32 v28, vcc, s12, v28
	v_addc_co_u32_e32 v29, vcc, v1, v29, vcc
	v_add_co_u32_e32 v30, vcc, s12, v30
	v_addc_co_u32_e32 v31, vcc, v1, v31, vcc
	v_add_co_u32_e32 v32, vcc, s12, v32
	v_addc_co_u32_e32 v33, vcc, v1, v33, vcc
	v_add_co_u32_e32 v34, vcc, s12, v34
	v_addc_co_u32_e32 v35, vcc, v1, v35, vcc
	v_or_b32_e32 v20, 1, v20
	v_cmp_eq_u64_e32 vcc, 0, v[18:19]
	v_lshlrev_b64 v[20:21], 1, v[20:21]
	v_or_b32_e32 v22, 1, v22
	s_or_b64 s[30:31], vcc, s[30:31]
	v_add_co_u32_e32 v20, vcc, s12, v20
	v_lshlrev_b64 v[22:23], 1, v[22:23]
	v_addc_co_u32_e32 v21, vcc, v1, v21, vcc
	v_or_b32_e32 v24, 1, v24
	v_add_co_u32_e32 v22, vcc, s12, v22
	v_lshlrev_b64 v[24:25], 1, v[24:25]
	v_addc_co_u32_e32 v23, vcc, v1, v23, vcc
	v_or_b32_e32 v26, 1, v26
	v_add_co_u32_e32 v24, vcc, s12, v24
	v_lshlrev_b64 v[26:27], 1, v[26:27]
	global_load_ushort v47, v[30:31], off
	global_load_ushort v48, v[34:35], off
	v_addc_co_u32_e32 v25, vcc, v1, v25, vcc
	v_add_co_u32_e32 v26, vcc, s12, v26
	v_addc_co_u32_e32 v27, vcc, v1, v27, vcc
	global_load_ushort v30, v[20:21], off
	global_load_ushort v31, v[22:23], off
	;; [unrolled: 1-line block ×6, first 2 shown]
	s_waitcnt vmcnt(7)
	v_lshlrev_b32_e32 v21, 16, v47
	s_waitcnt vmcnt(6)
	v_lshlrev_b32_e32 v20, 16, v48
	v_max_f32_e32 v20, v20, v20
	v_min_f32_e32 v23, v20, v38
	s_waitcnt vmcnt(5)
	v_lshlrev_b32_e32 v27, 16, v30
	s_waitcnt vmcnt(3)
	v_lshlrev_b32_e32 v25, 16, v34
	;; [unrolled: 2-line block ×3, first 2 shown]
	v_max_f32_e32 v21, v21, v21
	s_waitcnt vmcnt(0)
	v_lshlrev_b32_e32 v24, 16, v50
	v_max_f32_e32 v24, v24, v24
	v_max_f32_e32 v28, v27, v27
	;; [unrolled: 1-line block ×4, first 2 shown]
	v_lshlrev_b32_e32 v22, 16, v49
	v_min_f32_e32 v21, v21, v36
	v_lshlrev_b32_e32 v26, 16, v31
	v_min_f32_e32 v20, v24, v37
	v_min_f32_e32 v24, v28, v37
	;; [unrolled: 1-line block ×4, first 2 shown]
	v_max_f32_e32 v22, v22, v22
	v_max_f32_e32 v26, v26, v26
	v_xor_b32_e32 v25, 0x80000000, v21
	v_max_f32_e32 v29, v29, v40
	v_max_f32_e32 v28, v28, v41
	;; [unrolled: 1-line block ×3, first 2 shown]
	v_xor_b32_e32 v24, 0x80000000, v20
	v_min_f32_e32 v22, v22, v39
	v_min_f32_e32 v26, v26, v36
	v_pk_add_f32 v[28:29], v[28:29], 1.0 op_sel_hi:[1,0]
	v_pk_mul_f32 v[24:25], s[26:27], v[24:25]
	v_xor_b32_e32 v27, 0x80000000, v23
	v_max_f32_e32 v31, v26, v42
	v_xor_b32_e32 v26, 0x80000000, v22
	v_pk_mul_f32 v[22:23], v[22:23], v[28:29]
	v_mul_f32_e32 v28, 0x3fb8aa3b, v25
	v_mul_f32_e32 v29, 0x3fb8aa3b, v24
	v_pk_add_f32 v[30:31], v[30:31], 1.0 op_sel_hi:[1,0]
	v_pk_mul_f32 v[26:27], s[28:29], v[26:27]
	v_fma_f32 v32, v25, s38, -v28
	v_rndne_f32_e32 v33, v28
	v_fma_f32 v34, v24, s38, -v29
	v_rndne_f32_e32 v35, v29
	v_pk_mul_f32 v[20:21], v[20:21], v[30:31]
	v_mul_f32_e32 v30, 0x3fb8aa3b, v27
	v_mul_f32_e32 v31, 0x3fb8aa3b, v26
	v_fmac_f32_e32 v32, 0x32a5705f, v25
	v_sub_f32_e32 v28, v28, v33
	v_fmac_f32_e32 v34, 0x32a5705f, v24
	v_sub_f32_e32 v29, v29, v35
	v_fma_f32 v47, v27, s38, -v30
	v_rndne_f32_e32 v48, v30
	v_fma_f32 v49, v26, s38, -v31
	v_rndne_f32_e32 v50, v31
	v_add_f32_e32 v28, v28, v32
	v_add_f32_e32 v29, v29, v34
	v_cvt_i32_f32_e32 v33, v33
	v_cvt_i32_f32_e32 v35, v35
	v_fmac_f32_e32 v47, 0x32a5705f, v27
	v_sub_f32_e32 v30, v30, v48
	v_fmac_f32_e32 v49, 0x32a5705f, v26
	v_sub_f32_e32 v31, v31, v50
	v_exp_f32_e32 v28, v28
	v_exp_f32_e32 v29, v29
	v_add_f32_e32 v30, v30, v47
	v_add_f32_e32 v31, v31, v49
	v_cvt_i32_f32_e32 v48, v48
	v_cvt_i32_f32_e32 v50, v50
	v_exp_f32_e32 v30, v30
	v_exp_f32_e32 v31, v31
	v_ldexp_f32 v28, v28, v33
	v_ldexp_f32 v29, v29, v35
	v_cmp_ngt_f32_e32 vcc, s39, v24
	v_cmp_ngt_f32_e64 s[6:7], s39, v25
	v_cndmask_b32_e64 v28, 0, v28, s[6:7]
	v_cndmask_b32_e32 v29, 0, v29, vcc
	v_cmp_nlt_f32_e32 vcc, s40, v24
	v_cmp_nlt_f32_e64 s[6:7], s40, v25
	v_ldexp_f32 v30, v30, v48
	v_cmp_ngt_f32_e64 s[0:1], s39, v27
	v_ldexp_f32 v31, v31, v50
	v_cmp_ngt_f32_e64 s[2:3], s39, v26
	v_cndmask_b32_e64 v25, v44, v28, s[6:7]
	v_cndmask_b32_e32 v24, v44, v29, vcc
	v_cndmask_b32_e64 v30, 0, v30, s[0:1]
	v_cmp_nlt_f32_e64 s[0:1], s40, v27
	v_cndmask_b32_e64 v31, 0, v31, s[2:3]
	v_cmp_nlt_f32_e64 s[2:3], s40, v26
	v_pk_add_f32 v[24:25], v[24:25], 1.0 op_sel_hi:[1,0]
	v_cndmask_b32_e64 v27, v44, v30, s[0:1]
	v_cndmask_b32_e64 v26, v44, v31, s[2:3]
	v_div_scale_f32 v28, s[0:1], v25, v25, v21
	v_pk_add_f32 v[26:27], v[26:27], 1.0 op_sel_hi:[1,0]
	v_div_scale_f32 v30, s[0:1], v24, v24, v20
	v_rcp_f32_e32 v47, v28
	v_div_scale_f32 v32, s[2:3], v27, v27, v23
	v_rcp_f32_e32 v48, v30
	;; [unrolled: 2-line block ×3, first 2 shown]
	v_rcp_f32_e32 v50, v34
	v_fma_f32 v51, -v28, v47, 1.0
	v_div_scale_f32 v29, vcc, v21, v25, v21
	v_fma_f32 v52, -v30, v48, 1.0
	v_fmac_f32_e32 v47, v51, v47
	v_div_scale_f32 v31, s[0:1], v20, v24, v20
	v_fma_f32 v53, -v32, v49, 1.0
	v_fmac_f32_e32 v48, v52, v48
	v_mul_f32_e32 v51, v29, v47
	v_div_scale_f32 v33, s[2:3], v23, v27, v23
	v_fma_f32 v54, -v34, v50, 1.0
	v_fmac_f32_e32 v49, v53, v49
	v_mul_f32_e32 v52, v31, v48
	v_fma_f32 v55, -v28, v51, v29
	v_div_scale_f32 v35, s[6:7], v22, v26, v22
	v_fmac_f32_e32 v50, v54, v50
	v_mul_f32_e32 v53, v33, v49
	v_fma_f32 v56, -v30, v52, v31
	v_fmac_f32_e32 v51, v55, v47
	v_mul_f32_e32 v54, v35, v50
	v_fma_f32 v57, -v32, v53, v33
	v_fmac_f32_e32 v52, v56, v48
	v_fma_f32 v28, -v28, v51, v29
	v_fma_f32 v58, -v34, v54, v35
	v_fmac_f32_e32 v53, v57, v49
	v_fma_f32 v29, -v30, v52, v31
	v_div_fmas_f32 v28, v28, v47, v51
	s_mov_b64 vcc, s[0:1]
	v_fmac_f32_e32 v54, v58, v50
	v_fma_f32 v30, -v32, v53, v33
	v_div_fixup_f32 v21, v28, v25, v21
	v_div_fmas_f32 v25, v29, v48, v52
	s_mov_b64 vcc, s[2:3]
	v_fma_f32 v31, -v34, v54, v35
	v_div_fixup_f32 v20, v25, v24, v20
	v_div_fmas_f32 v24, v30, v49, v53
	v_bfe_u32 v25, v21, 16, 1
	s_mov_b64 vcc, s[6:7]
	v_div_fixup_f32 v23, v24, v27, v23
	v_div_fmas_f32 v24, v31, v50, v54
	v_bfe_u32 v27, v20, 16, 1
	v_add3_u32 v25, v21, v25, s41
	v_div_fixup_f32 v22, v24, v26, v22
	v_bfe_u32 v24, v23, 16, 1
	v_add3_u32 v26, v20, v27, s41
	v_lshrrev_b32_e32 v25, 16, v25
	v_cmp_o_f32_e32 vcc, v21, v21
	v_bfe_u32 v21, v22, 16, 1
	v_add3_u32 v24, v23, v24, s41
	v_lshrrev_b32_e32 v26, 16, v26
	v_cndmask_b32_e32 v25, v45, v25, vcc
	v_cmp_o_f32_e32 vcc, v20, v20
	v_add3_u32 v20, v22, v21, s41
	v_lshrrev_b32_e32 v21, 16, v24
	v_cndmask_b32_e32 v24, v45, v26, vcc
	v_cmp_o_f32_e32 vcc, v23, v23
	v_lshrrev_b32_e32 v23, 16, v20
	v_cndmask_b32_e32 v21, v45, v21, vcc
	v_cmp_o_f32_e32 vcc, v22, v22
	v_cndmask_b32_e32 v22, v45, v23, vcc
	v_perm_b32 v20, v25, v24, s42
	v_perm_b32 v21, v21, v22, s42
	global_store_dwordx2 v[16:17], v[20:21], off
	v_add_co_u32_e32 v16, vcc, s37, v16
	v_addc_co_u32_e32 v17, vcc, v17, v46, vcc
	s_andn2_b64 exec, exec, s[30:31]
	s_cbranch_execnz .LBB58_11
; %bb.12:
	s_or_b64 exec, exec, s[30:31]
	v_mad_u64_u32 v[2:3], s[0:1], v14, s15, v[2:3]
	v_mov_b32_e32 v4, v3
	v_mad_u64_u32 v[4:5], s[0:1], v15, s15, v[4:5]
	v_cmp_ne_u64_e32 vcc, v[12:13], v[14:15]
	v_mov_b32_e32 v3, v4
	s_orn2_b64 s[0:1], vcc, exec
.LBB58_13:
	s_or_b64 exec, exec, s[24:25]
	s_and_b64 exec, exec, s[0:1]
	s_cbranch_execz .LBB58_16
; %bb.14:
	s_add_u32 s0, s10, s18
	v_lshlrev_b64 v[4:5], 2, v[2:3]
	s_addc_u32 s1, s11, s19
	v_mov_b32_e32 v1, s1
	v_add_co_u32_e32 v4, vcc, s0, v4
	v_addc_co_u32_e32 v1, vcc, v1, v5, vcc
	s_lshl_b32 s2, s15, 2
	v_add_co_u32_e32 v4, vcc, 2, v4
	s_add_u32 s0, s8, s20
	v_addc_co_u32_e32 v5, vcc, 0, v1, vcc
	v_lshlrev_b64 v[6:7], 1, v[2:3]
	s_addc_u32 s1, s9, s21
	s_mov_b32 s26, 0
	v_mov_b32_e32 v1, s1
	v_add_co_u32_e32 v6, vcc, s0, v6
	v_addc_co_u32_e32 v7, vcc, v1, v7, vcc
	s_lshl_b32 s3, s15, 1
	s_mov_b64 s[0:1], 0
	v_max_f32_e64 v1, s14, s14
	v_max_f32_e64 v8, -s14, -s14
	s_mov_b32 s6, 0x3fb8aa3b
	s_mov_b32 s7, 0xc2ce8ed0
	s_mov_b32 s24, 0x42b17218
	v_mov_b32_e32 v9, 0x7f800000
	s_movk_i32 s25, 0x7fff
	v_mov_b32_e32 v10, 0x7fc0
	v_mov_b32_e32 v11, s36
	;; [unrolled: 1-line block ×4, first 2 shown]
.LBB58_15:                              ; =>This Inner Loop Header: Depth=1
	global_load_dword v14, v[4:5], off offset:-2
	v_add_co_u32_e32 v2, vcc, s15, v2
	v_addc_co_u32_e32 v3, vcc, v3, v11, vcc
	v_add_co_u32_e32 v4, vcc, s2, v4
	v_addc_co_u32_e32 v5, vcc, v5, v12, vcc
	v_cmp_le_i64_e32 vcc, s[16:17], v[2:3]
	s_or_b64 s[0:1], vcc, s[0:1]
	s_waitcnt vmcnt(0)
	v_lshlrev_b32_e32 v15, 16, v14
	v_max_f32_e32 v15, v15, v15
	v_min_f32_e32 v16, v15, v1
	v_mul_f32_e64 v15, -v16, s13
	v_mul_f32_e32 v17, 0x3fb8aa3b, v15
	v_fma_f32 v18, v15, s6, -v17
	v_rndne_f32_e32 v19, v17
	v_fmac_f32_e32 v18, 0x32a5705f, v15
	v_sub_f32_e32 v17, v17, v19
	v_add_f32_e32 v17, v17, v18
	v_cvt_i32_f32_e32 v19, v19
	v_exp_f32_e32 v17, v17
	v_and_b32_e32 v14, 0xffff0000, v14
	v_max_f32_e32 v14, v14, v14
	v_cmp_ngt_f32_e32 vcc, s7, v15
	v_ldexp_f32 v17, v17, v19
	v_min_f32_e32 v14, v14, v1
	v_cndmask_b32_e32 v17, 0, v17, vcc
	v_cmp_nlt_f32_e32 vcc, s24, v15
	v_max_f32_e32 v14, v14, v8
	v_cndmask_b32_e32 v15, v9, v17, vcc
	v_pk_add_f32 v[14:15], v[14:15], 1.0 op_sel_hi:[1,0]
	v_mul_f32_e32 v14, v16, v14
	v_div_scale_f32 v16, s[26:27], v15, v15, v14
	v_rcp_f32_e32 v18, v16
	v_div_scale_f32 v17, vcc, v14, v15, v14
	v_fma_f32 v19, -v16, v18, 1.0
	v_fmac_f32_e32 v18, v19, v18
	v_mul_f32_e32 v19, v17, v18
	v_fma_f32 v20, -v16, v19, v17
	v_fmac_f32_e32 v19, v20, v18
	v_fma_f32 v16, -v16, v19, v17
	v_div_fmas_f32 v16, v16, v18, v19
	v_div_fixup_f32 v14, v16, v15, v14
	v_bfe_u32 v15, v14, 16, 1
	v_add3_u32 v15, v14, v15, s25
	v_lshrrev_b32_e32 v15, 16, v15
	v_cmp_o_f32_e32 vcc, v14, v14
	v_cndmask_b32_e32 v14, v10, v15, vcc
	global_store_short v[6:7], v14, off
	v_add_co_u32_e32 v6, vcc, s3, v6
	v_addc_co_u32_e32 v7, vcc, v7, v13, vcc
	s_andn2_b64 exec, exec, s[0:1]
	s_cbranch_execnz .LBB58_15
.LBB58_16:
	s_or_b64 exec, exec, s[22:23]
	s_cbranch_execnz .LBB58_23
.LBB58_17:
	s_lshr_b32 s17, s16, 2
	v_cmp_gt_u32_e32 vcc, s17, v0
	v_max_f32_e64 v10, s14, s14
	v_max_f32_e64 v11, -s14, -s14
	s_and_saveexec_b64 s[14:15], vcc
	s_cbranch_execz .LBB58_20
; %bb.18:
	s_load_dword s0, s[4:5], 0x2c
	v_lshlrev_b32_e32 v1, 3, v0
	s_mov_b32 s1, 0
	v_mov_b32_e32 v12, 0x7fc00000
	v_mov_b32_e32 v13, 0x7fc0
	s_waitcnt lgkmcnt(0)
	s_and_b32 s22, s0, 0xffff
	s_add_u32 s0, s8, s20
	s_addc_u32 s2, s9, s21
	s_lshl_b32 s20, s22, 3
	v_mov_b32_e32 v2, s2
	v_add_co_u32_e32 v6, vcc, s0, v1
	s_add_u32 s0, s10, s18
	v_addc_co_u32_e32 v7, vcc, 0, v2, vcc
	v_lshlrev_b32_e32 v1, 4, v0
	s_addc_u32 s2, s11, s19
	v_mov_b32_e32 v2, s2
	v_add_co_u32_e32 v1, vcc, s0, v1
	v_addc_co_u32_e32 v2, vcc, 0, v2, vcc
	v_add_co_u32_e32 v8, vcc, 14, v1
	v_addc_co_u32_e32 v9, vcc, 0, v2, vcc
	s_lshl_b32 s10, s22, 4
	s_mov_b64 s[8:9], 0
	s_mov_b32 s11, 0x3fb8aa3b
	s_mov_b32 s18, 0xc2ce8ed0
	;; [unrolled: 1-line block ×3, first 2 shown]
	v_mov_b32_e32 v1, 0x7f800000
	s_movk_i32 s21, 0x7fff
	v_mov_b32_e32 v14, s1
	v_mov_b32_e32 v15, s1
	;; [unrolled: 1-line block ×3, first 2 shown]
.LBB58_19:                              ; =>This Inner Loop Header: Depth=1
	global_load_dwordx4 v[2:5], v[8:9], off offset:-14
	v_add_co_u32_e32 v8, vcc, s10, v8
	v_add_u32_e32 v16, s22, v16
	v_addc_co_u32_e32 v9, vcc, v9, v15, vcc
	v_cmp_le_u32_e32 vcc, s17, v16
	s_or_b64 s[8:9], vcc, s[8:9]
	s_waitcnt vmcnt(0)
	v_lshlrev_b32_e32 v17, 16, v2
	v_lshlrev_b32_e32 v18, 16, v3
	v_and_b32_e32 v3, 0xffff0000, v3
	v_lshlrev_b32_e32 v19, 16, v4
	v_lshlrev_b32_e32 v20, 16, v5
	v_and_b32_e32 v5, 0xffff0000, v5
	v_max_f32_e32 v17, v17, v17
	v_and_b32_e32 v4, 0xffff0000, v4
	v_max_f32_e32 v18, v18, v18
	v_max_f32_e32 v3, v3, v3
	;; [unrolled: 1-line block ×5, first 2 shown]
	v_min_f32_e32 v17, v17, v10
	v_max_f32_e32 v4, v4, v4
	v_min_f32_e32 v22, v18, v10
	v_min_f32_e32 v3, v3, v10
	;; [unrolled: 1-line block ×5, first 2 shown]
	v_mul_f32_e64 v19, -v17, s13
	v_min_f32_e32 v18, v4, v10
	v_max_f32_e32 v4, v3, v11
	v_mul_f32_e64 v3, -v22, s13
	v_mul_f32_e64 v21, -v23, s13
	v_max_f32_e32 v20, v5, v11
	v_mul_f32_e64 v5, -v24, s13
	v_mul_f32_e32 v25, 0x3fb8aa3b, v19
	v_mul_f32_e32 v26, 0x3fb8aa3b, v3
	;; [unrolled: 1-line block ×4, first 2 shown]
	v_fma_f32 v29, v19, s11, -v25
	v_rndne_f32_e32 v30, v25
	v_fma_f32 v31, v3, s11, -v26
	v_rndne_f32_e32 v32, v26
	;; [unrolled: 2-line block ×4, first 2 shown]
	v_fmac_f32_e32 v29, 0x32a5705f, v19
	v_sub_f32_e32 v25, v25, v30
	v_fmac_f32_e32 v31, 0x32a5705f, v3
	v_sub_f32_e32 v26, v26, v32
	;; [unrolled: 2-line block ×4, first 2 shown]
	v_add_f32_e32 v25, v25, v29
	v_cvt_i32_f32_e32 v30, v30
	v_add_f32_e32 v26, v26, v31
	v_add_f32_e32 v27, v27, v33
	v_add_f32_e32 v28, v28, v35
	v_exp_f32_e32 v25, v25
	v_cvt_i32_f32_e32 v32, v32
	v_cvt_i32_f32_e32 v34, v34
	;; [unrolled: 1-line block ×3, first 2 shown]
	v_exp_f32_e32 v26, v26
	v_exp_f32_e32 v27, v27
	;; [unrolled: 1-line block ×3, first 2 shown]
	v_and_b32_e32 v2, 0xffff0000, v2
	v_max_f32_e32 v2, v2, v2
	v_ldexp_f32 v25, v25, v30
	v_cmp_ngt_f32_e64 s[6:7], s18, v19
	v_min_f32_e32 v2, v2, v10
	v_ldexp_f32 v26, v26, v32
	v_cmp_ngt_f32_e32 vcc, s18, v3
	v_ldexp_f32 v27, v27, v34
	v_cmp_ngt_f32_e64 s[0:1], s18, v21
	v_ldexp_f32 v28, v28, v36
	v_cmp_ngt_f32_e64 s[2:3], s18, v5
	v_cndmask_b32_e64 v25, 0, v25, s[6:7]
	v_cmp_nlt_f32_e64 s[6:7], s19, v19
	v_max_f32_e32 v2, v2, v11
	v_cndmask_b32_e32 v26, 0, v26, vcc
	v_cmp_nlt_f32_e32 vcc, s19, v3
	v_cndmask_b32_e64 v27, 0, v27, s[0:1]
	v_cmp_nlt_f32_e64 s[0:1], s19, v21
	v_cndmask_b32_e64 v21, 0, v28, s[2:3]
	v_cmp_nlt_f32_e64 s[2:3], s19, v5
	v_cndmask_b32_e64 v3, v1, v25, s[6:7]
	v_max_f32_e32 v18, v18, v11
	v_cndmask_b32_e32 v5, v1, v26, vcc
	v_cndmask_b32_e64 v19, v1, v27, s[0:1]
	v_cndmask_b32_e64 v21, v1, v21, s[2:3]
	v_pk_add_f32 v[2:3], v[2:3], 1.0 op_sel_hi:[1,0]
	v_pk_add_f32 v[4:5], v[4:5], 1.0 op_sel_hi:[1,0]
	;; [unrolled: 1-line block ×4, first 2 shown]
	v_mul_f32_e32 v2, v17, v2
	v_mul_f32_e32 v4, v22, v4
	;; [unrolled: 1-line block ×4, first 2 shown]
	v_div_scale_f32 v20, s[0:1], v3, v3, v2
	v_div_scale_f32 v23, s[0:1], v5, v5, v4
	v_rcp_f32_e32 v29, v20
	v_div_scale_f32 v25, s[2:3], v19, v19, v17
	v_rcp_f32_e32 v30, v23
	;; [unrolled: 2-line block ×3, first 2 shown]
	v_rcp_f32_e32 v32, v27
	v_fma_f32 v33, -v20, v29, 1.0
	v_div_scale_f32 v22, vcc, v2, v3, v2
	v_fma_f32 v34, -v23, v30, 1.0
	v_fmac_f32_e32 v29, v33, v29
	v_div_scale_f32 v24, s[0:1], v4, v5, v4
	v_fma_f32 v35, -v25, v31, 1.0
	v_fmac_f32_e32 v30, v34, v30
	v_mul_f32_e32 v33, v22, v29
	v_div_scale_f32 v26, s[2:3], v17, v19, v17
	v_fma_f32 v36, -v27, v32, 1.0
	v_fmac_f32_e32 v31, v35, v31
	v_mul_f32_e32 v34, v24, v30
	v_fma_f32 v37, -v20, v33, v22
	v_div_scale_f32 v28, s[6:7], v18, v21, v18
	v_fmac_f32_e32 v32, v36, v32
	v_mul_f32_e32 v35, v26, v31
	v_fma_f32 v38, -v23, v34, v24
	v_fmac_f32_e32 v33, v37, v29
	v_mul_f32_e32 v36, v28, v32
	v_fma_f32 v39, -v25, v35, v26
	v_fmac_f32_e32 v34, v38, v30
	v_fma_f32 v20, -v20, v33, v22
	v_fma_f32 v40, -v27, v36, v28
	v_fmac_f32_e32 v35, v39, v31
	v_fma_f32 v22, -v23, v34, v24
	v_div_fmas_f32 v20, v20, v29, v33
	s_mov_b64 vcc, s[0:1]
	v_fmac_f32_e32 v36, v40, v32
	v_fma_f32 v23, -v25, v35, v26
	v_div_fixup_f32 v2, v20, v3, v2
	v_div_fmas_f32 v3, v22, v30, v34
	s_mov_b64 vcc, s[2:3]
	v_fma_f32 v24, -v27, v36, v28
	v_bfe_u32 v20, v2, 16, 1
	v_div_fixup_f32 v3, v3, v5, v4
	v_div_fmas_f32 v4, v23, v31, v35
	s_mov_b64 vcc, s[6:7]
	v_add3_u32 v5, v2, v20, s21
	v_bfe_u32 v20, v3, 16, 1
	v_div_fixup_f32 v4, v4, v19, v17
	v_div_fmas_f32 v17, v24, v32, v36
	v_lshrrev_b32_e32 v5, 16, v5
	v_add3_u32 v19, v3, v20, s21
	v_bfe_u32 v20, v4, 16, 1
	v_div_fixup_f32 v17, v17, v21, v18
	v_cmp_o_f32_e32 vcc, v2, v2
	v_and_b32_e32 v2, 0xffff0000, v19
	v_add3_u32 v18, v4, v20, s21
	v_bfe_u32 v19, v17, 16, 1
	v_cndmask_b32_e32 v5, v13, v5, vcc
	v_cmp_o_f32_e32 vcc, v3, v3
	v_lshrrev_b32_e32 v3, 16, v18
	v_add3_u32 v18, v17, v19, s21
	v_cndmask_b32_e32 v2, v12, v2, vcc
	v_cmp_o_f32_e32 vcc, v4, v4
	v_and_b32_e32 v4, 0xffff0000, v18
	v_cndmask_b32_e32 v3, v13, v3, vcc
	v_cmp_o_f32_e32 vcc, v17, v17
	v_cndmask_b32_e32 v4, v12, v4, vcc
	v_or_b32_e32 v3, v4, v3
	v_or3_b32 v2, 0, v2, v5
	v_or3_b32 v3, v3, 0, 0
	global_store_dwordx2 v[6:7], v[2:3], off
	v_add_co_u32_e32 v6, vcc, s20, v6
	v_addc_co_u32_e32 v7, vcc, v7, v14, vcc
	s_andn2_b64 exec, exec, s[8:9]
	s_cbranch_execnz .LBB58_19
.LBB58_20:
	s_or_b64 exec, exec, s[14:15]
	s_and_b32 s0, s16, 0x7ffffffc
	v_add_u32_e32 v2, s0, v0
	v_cmp_gt_i32_e32 vcc, s16, v2
	s_and_saveexec_b64 s[0:1], vcc
	s_cbranch_execz .LBB58_23
; %bb.21:
	s_load_dword s0, s[4:5], 0x2c
	s_lshl_b32 s1, s16, 1
	s_and_b32 s1, s1, -8
	s_mov_b64 s[2:3], 0
	v_lshl_add_u32 v0, v0, 1, s1
	s_waitcnt lgkmcnt(0)
	s_and_b32 s4, s0, 0xffff
	s_lshl_b32 s5, s4, 1
	v_mov_b32_e32 v4, s35
	s_mov_b32 s6, 0x3fb8aa3b
	s_mov_b32 s7, 0xc2ce8ed0
	;; [unrolled: 1-line block ×3, first 2 shown]
	v_mov_b32_e32 v5, 0x7f800000
	s_movk_i32 s9, 0x7fff
	v_mov_b32_e32 v6, 0x7fc0
	v_mov_b32_e32 v7, s34
.LBB58_22:                              ; =>This Inner Loop Header: Depth=1
	v_ashrrev_i32_e32 v1, 31, v0
	v_lshlrev_b64 v[8:9], 1, v[0:1]
	v_add_co_u32_e32 v8, vcc, s12, v8
	v_addc_co_u32_e32 v9, vcc, v4, v9, vcc
	global_load_dword v1, v[8:9], off
	v_ashrrev_i32_e32 v3, 31, v2
	v_lshlrev_b64 v[8:9], 1, v[2:3]
	v_add_co_u32_e32 v8, vcc, s33, v8
	v_add_u32_e32 v2, s4, v2
	v_addc_co_u32_e32 v9, vcc, v7, v9, vcc
	v_cmp_le_i32_e32 vcc, s16, v2
	s_or_b64 s[2:3], vcc, s[2:3]
	v_add_u32_e32 v0, s5, v0
	s_waitcnt vmcnt(0)
	v_lshlrev_b32_e32 v3, 16, v1
	v_max_f32_e32 v3, v3, v3
	v_min_f32_e32 v3, v3, v10
	v_mul_f32_e64 v13, -v3, s13
	v_mul_f32_e32 v12, 0x3fb8aa3b, v13
	v_fma_f32 v14, v13, s6, -v12
	v_rndne_f32_e32 v15, v12
	v_fmac_f32_e32 v14, 0x32a5705f, v13
	v_sub_f32_e32 v12, v12, v15
	v_add_f32_e32 v12, v12, v14
	v_cvt_i32_f32_e32 v15, v15
	v_exp_f32_e32 v14, v12
	v_and_b32_e32 v1, 0xffff0000, v1
	v_max_f32_e32 v1, v1, v1
	v_min_f32_e32 v1, v1, v10
	v_max_f32_e32 v12, v1, v11
	v_ldexp_f32 v1, v14, v15
	v_cmp_ngt_f32_e64 s[0:1], s7, v13
	v_cndmask_b32_e64 v1, 0, v1, s[0:1]
	v_cmp_nlt_f32_e64 s[0:1], s8, v13
	v_cndmask_b32_e64 v13, v5, v1, s[0:1]
	v_pk_add_f32 v[12:13], v[12:13], 1.0 op_sel_hi:[1,0]
	v_mul_f32_e32 v1, v3, v12
	v_div_scale_f32 v3, s[0:1], v13, v13, v1
	v_rcp_f32_e32 v12, v3
	v_div_scale_f32 v14, vcc, v1, v13, v1
	v_fma_f32 v15, -v3, v12, 1.0
	v_fmac_f32_e32 v12, v15, v12
	v_mul_f32_e32 v15, v14, v12
	v_fma_f32 v16, -v3, v15, v14
	v_fmac_f32_e32 v15, v16, v12
	v_fma_f32 v3, -v3, v15, v14
	v_div_fmas_f32 v3, v3, v12, v15
	v_div_fixup_f32 v1, v3, v13, v1
	v_bfe_u32 v3, v1, 16, 1
	v_add3_u32 v3, v1, v3, s9
	v_lshrrev_b32_e32 v3, 16, v3
	v_cmp_o_f32_e32 vcc, v1, v1
	v_cndmask_b32_e32 v1, v6, v3, vcc
	global_store_short v[8:9], v1, off
	s_andn2_b64 exec, exec, s[2:3]
	s_cbranch_execnz .LBB58_22
.LBB58_23:
	s_endpgm
	.section	.rodata,"a",@progbits
	.p2align	6, 0x0
	.amdhsa_kernel _ZN4vllm24swigluoai_and_mul_kernelIN3c108BFloat16ETnPFT_RKS3_S5_ffEXadL_ZNS_17swigluoai_and_mulIS2_EES3_S5_S5_ffEEEEvPS3_PS4_iff
		.amdhsa_group_segment_fixed_size 0
		.amdhsa_private_segment_fixed_size 0
		.amdhsa_kernarg_size 288
		.amdhsa_user_sgpr_count 6
		.amdhsa_user_sgpr_private_segment_buffer 1
		.amdhsa_user_sgpr_dispatch_ptr 0
		.amdhsa_user_sgpr_queue_ptr 0
		.amdhsa_user_sgpr_kernarg_segment_ptr 1
		.amdhsa_user_sgpr_dispatch_id 0
		.amdhsa_user_sgpr_flat_scratch_init 0
		.amdhsa_user_sgpr_kernarg_preload_length 0
		.amdhsa_user_sgpr_kernarg_preload_offset 0
		.amdhsa_user_sgpr_private_segment_size 0
		.amdhsa_uses_dynamic_stack 0
		.amdhsa_system_sgpr_private_segment_wavefront_offset 0
		.amdhsa_system_sgpr_workgroup_id_x 1
		.amdhsa_system_sgpr_workgroup_id_y 0
		.amdhsa_system_sgpr_workgroup_id_z 0
		.amdhsa_system_sgpr_workgroup_info 0
		.amdhsa_system_vgpr_workitem_id 0
		.amdhsa_next_free_vgpr 59
		.amdhsa_next_free_sgpr 44
		.amdhsa_accum_offset 60
		.amdhsa_reserve_vcc 1
		.amdhsa_reserve_flat_scratch 0
		.amdhsa_float_round_mode_32 0
		.amdhsa_float_round_mode_16_64 0
		.amdhsa_float_denorm_mode_32 3
		.amdhsa_float_denorm_mode_16_64 3
		.amdhsa_dx10_clamp 1
		.amdhsa_ieee_mode 1
		.amdhsa_fp16_overflow 0
		.amdhsa_tg_split 0
		.amdhsa_exception_fp_ieee_invalid_op 0
		.amdhsa_exception_fp_denorm_src 0
		.amdhsa_exception_fp_ieee_div_zero 0
		.amdhsa_exception_fp_ieee_overflow 0
		.amdhsa_exception_fp_ieee_underflow 0
		.amdhsa_exception_fp_ieee_inexact 0
		.amdhsa_exception_int_div_zero 0
	.end_amdhsa_kernel
	.section	.text._ZN4vllm24swigluoai_and_mul_kernelIN3c108BFloat16ETnPFT_RKS3_S5_ffEXadL_ZNS_17swigluoai_and_mulIS2_EES3_S5_S5_ffEEEEvPS3_PS4_iff,"axG",@progbits,_ZN4vllm24swigluoai_and_mul_kernelIN3c108BFloat16ETnPFT_RKS3_S5_ffEXadL_ZNS_17swigluoai_and_mulIS2_EES3_S5_S5_ffEEEEvPS3_PS4_iff,comdat
.Lfunc_end58:
	.size	_ZN4vllm24swigluoai_and_mul_kernelIN3c108BFloat16ETnPFT_RKS3_S5_ffEXadL_ZNS_17swigluoai_and_mulIS2_EES3_S5_S5_ffEEEEvPS3_PS4_iff, .Lfunc_end58-_ZN4vllm24swigluoai_and_mul_kernelIN3c108BFloat16ETnPFT_RKS3_S5_ffEXadL_ZNS_17swigluoai_and_mulIS2_EES3_S5_S5_ffEEEEvPS3_PS4_iff
                                        ; -- End function
	.section	.AMDGPU.csdata,"",@progbits
; Kernel info:
; codeLenInByte = 4672
; NumSgprs: 48
; NumVgprs: 59
; NumAgprs: 0
; TotalNumVgprs: 59
; ScratchSize: 0
; MemoryBound: 0
; FloatMode: 240
; IeeeMode: 1
; LDSByteSize: 0 bytes/workgroup (compile time only)
; SGPRBlocks: 5
; VGPRBlocks: 7
; NumSGPRsForWavesPerEU: 48
; NumVGPRsForWavesPerEU: 59
; AccumOffset: 60
; Occupancy: 8
; WaveLimiterHint : 0
; COMPUTE_PGM_RSRC2:SCRATCH_EN: 0
; COMPUTE_PGM_RSRC2:USER_SGPR: 6
; COMPUTE_PGM_RSRC2:TRAP_HANDLER: 0
; COMPUTE_PGM_RSRC2:TGID_X_EN: 1
; COMPUTE_PGM_RSRC2:TGID_Y_EN: 0
; COMPUTE_PGM_RSRC2:TGID_Z_EN: 0
; COMPUTE_PGM_RSRC2:TIDIG_COMP_CNT: 0
; COMPUTE_PGM_RSRC3_GFX90A:ACCUM_OFFSET: 14
; COMPUTE_PGM_RSRC3_GFX90A:TG_SPLIT: 0
	.section	.text._ZN4vllm17activation_kernelIfTnPFT_RKS1_EXadL_ZNS_15gelu_new_kernelIfEES1_S3_EELb1ELb1EEEvPS1_PS2_i,"axG",@progbits,_ZN4vllm17activation_kernelIfTnPFT_RKS1_EXadL_ZNS_15gelu_new_kernelIfEES1_S3_EELb1ELb1EEEvPS1_PS2_i,comdat
	.protected	_ZN4vllm17activation_kernelIfTnPFT_RKS1_EXadL_ZNS_15gelu_new_kernelIfEES1_S3_EELb1ELb1EEEvPS1_PS2_i ; -- Begin function _ZN4vllm17activation_kernelIfTnPFT_RKS1_EXadL_ZNS_15gelu_new_kernelIfEES1_S3_EELb1ELb1EEEvPS1_PS2_i
	.globl	_ZN4vllm17activation_kernelIfTnPFT_RKS1_EXadL_ZNS_15gelu_new_kernelIfEES1_S3_EELb1ELb1EEEvPS1_PS2_i
	.p2align	8
	.type	_ZN4vllm17activation_kernelIfTnPFT_RKS1_EXadL_ZNS_15gelu_new_kernelIfEES1_S3_EELb1ELb1EEEvPS1_PS2_i,@function
_ZN4vllm17activation_kernelIfTnPFT_RKS1_EXadL_ZNS_15gelu_new_kernelIfEES1_S3_EELb1ELb1EEEvPS1_PS2_i: ; @_ZN4vllm17activation_kernelIfTnPFT_RKS1_EXadL_ZNS_15gelu_new_kernelIfEES1_S3_EELb1ELb1EEEvPS1_PS2_i
; %bb.0:
	s_add_u32 flat_scratch_lo, s6, s9
	s_load_dword s6, s[4:5], 0x10
	s_addc_u32 flat_scratch_hi, s7, 0
	s_add_u32 s0, s0, s9
	s_addc_u32 s1, s1, 0
	s_mov_b32 s32, 0
	s_waitcnt lgkmcnt(0)
	s_ashr_i32 s7, s6, 31
	s_lshr_b32 s7, s7, 29
	s_add_i32 s6, s6, s7
	s_ashr_i32 s6, s6, 3
	v_cmp_gt_i32_e32 vcc, s6, v0
	s_and_saveexec_b64 s[6:7], vcc
	s_cbranch_execz .LBB59_2
; %bb.1:
	s_add_u32 s8, s4, 24
	s_addc_u32 s9, s5, 0
	s_getpc_b64 s[4:5]
	s_add_u32 s4, s4, .str@rel32@lo+4
	s_addc_u32 s5, s5, .str@rel32@hi+12
	s_getpc_b64 s[6:7]
	s_add_u32 s6, s6, __PRETTY_FUNCTION__._ZN4vllm5ld256ERNS_7u32x8_tEPKS0_@rel32@lo+4
	s_addc_u32 s7, s7, __PRETTY_FUNCTION__._ZN4vllm5ld256ERNS_7u32x8_tEPKS0_@rel32@hi+12
	v_mov_b32_e32 v0, s4
	v_mov_b32_e32 v1, s5
	;; [unrolled: 1-line block ×5, first 2 shown]
	s_getpc_b64 s[10:11]
	s_add_u32 s10, s10, __assert_fail@rel32@lo+4
	s_addc_u32 s11, s11, __assert_fail@rel32@hi+12
	s_swappc_b64 s[30:31], s[10:11]
	; divergent unreachable
.LBB59_2:
	s_endpgm
	.section	.rodata,"a",@progbits
	.p2align	6, 0x0
	.amdhsa_kernel _ZN4vllm17activation_kernelIfTnPFT_RKS1_EXadL_ZNS_15gelu_new_kernelIfEES1_S3_EELb1ELb1EEEvPS1_PS2_i
		.amdhsa_group_segment_fixed_size 0
		.amdhsa_private_segment_fixed_size 64
		.amdhsa_kernarg_size 280
		.amdhsa_user_sgpr_count 8
		.amdhsa_user_sgpr_private_segment_buffer 1
		.amdhsa_user_sgpr_dispatch_ptr 0
		.amdhsa_user_sgpr_queue_ptr 0
		.amdhsa_user_sgpr_kernarg_segment_ptr 1
		.amdhsa_user_sgpr_dispatch_id 0
		.amdhsa_user_sgpr_flat_scratch_init 1
		.amdhsa_user_sgpr_kernarg_preload_length 0
		.amdhsa_user_sgpr_kernarg_preload_offset 0
		.amdhsa_user_sgpr_private_segment_size 0
		.amdhsa_uses_dynamic_stack 0
		.amdhsa_system_sgpr_private_segment_wavefront_offset 1
		.amdhsa_system_sgpr_workgroup_id_x 1
		.amdhsa_system_sgpr_workgroup_id_y 0
		.amdhsa_system_sgpr_workgroup_id_z 0
		.amdhsa_system_sgpr_workgroup_info 0
		.amdhsa_system_vgpr_workitem_id 0
		.amdhsa_next_free_vgpr 51
		.amdhsa_next_free_sgpr 34
		.amdhsa_accum_offset 52
		.amdhsa_reserve_vcc 1
		.amdhsa_reserve_flat_scratch 1
		.amdhsa_float_round_mode_32 0
		.amdhsa_float_round_mode_16_64 0
		.amdhsa_float_denorm_mode_32 3
		.amdhsa_float_denorm_mode_16_64 3
		.amdhsa_dx10_clamp 1
		.amdhsa_ieee_mode 1
		.amdhsa_fp16_overflow 0
		.amdhsa_tg_split 0
		.amdhsa_exception_fp_ieee_invalid_op 0
		.amdhsa_exception_fp_denorm_src 0
		.amdhsa_exception_fp_ieee_div_zero 0
		.amdhsa_exception_fp_ieee_overflow 0
		.amdhsa_exception_fp_ieee_underflow 0
		.amdhsa_exception_fp_ieee_inexact 0
		.amdhsa_exception_int_div_zero 0
	.end_amdhsa_kernel
	.section	.text._ZN4vllm17activation_kernelIfTnPFT_RKS1_EXadL_ZNS_15gelu_new_kernelIfEES1_S3_EELb1ELb1EEEvPS1_PS2_i,"axG",@progbits,_ZN4vllm17activation_kernelIfTnPFT_RKS1_EXadL_ZNS_15gelu_new_kernelIfEES1_S3_EELb1ELb1EEEvPS1_PS2_i,comdat
.Lfunc_end59:
	.size	_ZN4vllm17activation_kernelIfTnPFT_RKS1_EXadL_ZNS_15gelu_new_kernelIfEES1_S3_EELb1ELb1EEEvPS1_PS2_i, .Lfunc_end59-_ZN4vllm17activation_kernelIfTnPFT_RKS1_EXadL_ZNS_15gelu_new_kernelIfEES1_S3_EELb1ELb1EEEvPS1_PS2_i
                                        ; -- End function
	.section	.AMDGPU.csdata,"",@progbits
; Kernel info:
; codeLenInByte = 160
; NumSgprs: 40
; NumVgprs: 51
; NumAgprs: 0
; TotalNumVgprs: 51
; ScratchSize: 64
; MemoryBound: 0
; FloatMode: 240
; IeeeMode: 1
; LDSByteSize: 0 bytes/workgroup (compile time only)
; SGPRBlocks: 4
; VGPRBlocks: 6
; NumSGPRsForWavesPerEU: 40
; NumVGPRsForWavesPerEU: 51
; AccumOffset: 52
; Occupancy: 8
; WaveLimiterHint : 1
; COMPUTE_PGM_RSRC2:SCRATCH_EN: 1
; COMPUTE_PGM_RSRC2:USER_SGPR: 8
; COMPUTE_PGM_RSRC2:TRAP_HANDLER: 0
; COMPUTE_PGM_RSRC2:TGID_X_EN: 1
; COMPUTE_PGM_RSRC2:TGID_Y_EN: 0
; COMPUTE_PGM_RSRC2:TGID_Z_EN: 0
; COMPUTE_PGM_RSRC2:TIDIG_COMP_CNT: 0
; COMPUTE_PGM_RSRC3_GFX90A:ACCUM_OFFSET: 12
; COMPUTE_PGM_RSRC3_GFX90A:TG_SPLIT: 0
	.section	.text._ZN4vllm17activation_kernelIN3c104HalfETnPFT_RKS3_EXadL_ZNS_15gelu_new_kernelIS2_EES3_S5_EELb1ELb1EEEvPS3_PS4_i,"axG",@progbits,_ZN4vllm17activation_kernelIN3c104HalfETnPFT_RKS3_EXadL_ZNS_15gelu_new_kernelIS2_EES3_S5_EELb1ELb1EEEvPS3_PS4_i,comdat
	.protected	_ZN4vllm17activation_kernelIN3c104HalfETnPFT_RKS3_EXadL_ZNS_15gelu_new_kernelIS2_EES3_S5_EELb1ELb1EEEvPS3_PS4_i ; -- Begin function _ZN4vllm17activation_kernelIN3c104HalfETnPFT_RKS3_EXadL_ZNS_15gelu_new_kernelIS2_EES3_S5_EELb1ELb1EEEvPS3_PS4_i
	.globl	_ZN4vllm17activation_kernelIN3c104HalfETnPFT_RKS3_EXadL_ZNS_15gelu_new_kernelIS2_EES3_S5_EELb1ELb1EEEvPS3_PS4_i
	.p2align	8
	.type	_ZN4vllm17activation_kernelIN3c104HalfETnPFT_RKS3_EXadL_ZNS_15gelu_new_kernelIS2_EES3_S5_EELb1ELb1EEEvPS3_PS4_i,@function
_ZN4vllm17activation_kernelIN3c104HalfETnPFT_RKS3_EXadL_ZNS_15gelu_new_kernelIS2_EES3_S5_EELb1ELb1EEEvPS3_PS4_i: ; @_ZN4vllm17activation_kernelIN3c104HalfETnPFT_RKS3_EXadL_ZNS_15gelu_new_kernelIS2_EES3_S5_EELb1ELb1EEEvPS3_PS4_i
; %bb.0:
	s_add_u32 flat_scratch_lo, s6, s9
	s_load_dword s6, s[4:5], 0x10
	s_addc_u32 flat_scratch_hi, s7, 0
	s_add_u32 s0, s0, s9
	s_addc_u32 s1, s1, 0
	s_mov_b32 s32, 0
	s_waitcnt lgkmcnt(0)
	s_ashr_i32 s7, s6, 31
	s_lshr_b32 s7, s7, 28
	s_add_i32 s6, s6, s7
	s_ashr_i32 s6, s6, 4
	v_cmp_gt_i32_e32 vcc, s6, v0
	s_and_saveexec_b64 s[6:7], vcc
	s_cbranch_execz .LBB60_2
; %bb.1:
	s_add_u32 s8, s4, 24
	s_addc_u32 s9, s5, 0
	s_getpc_b64 s[4:5]
	s_add_u32 s4, s4, .str@rel32@lo+4
	s_addc_u32 s5, s5, .str@rel32@hi+12
	s_getpc_b64 s[6:7]
	s_add_u32 s6, s6, __PRETTY_FUNCTION__._ZN4vllm5ld256ERNS_7u32x8_tEPKS0_@rel32@lo+4
	s_addc_u32 s7, s7, __PRETTY_FUNCTION__._ZN4vllm5ld256ERNS_7u32x8_tEPKS0_@rel32@hi+12
	v_mov_b32_e32 v0, s4
	v_mov_b32_e32 v1, s5
	;; [unrolled: 1-line block ×5, first 2 shown]
	s_getpc_b64 s[10:11]
	s_add_u32 s10, s10, __assert_fail@rel32@lo+4
	s_addc_u32 s11, s11, __assert_fail@rel32@hi+12
	s_swappc_b64 s[30:31], s[10:11]
	; divergent unreachable
.LBB60_2:
	s_endpgm
	.section	.rodata,"a",@progbits
	.p2align	6, 0x0
	.amdhsa_kernel _ZN4vllm17activation_kernelIN3c104HalfETnPFT_RKS3_EXadL_ZNS_15gelu_new_kernelIS2_EES3_S5_EELb1ELb1EEEvPS3_PS4_i
		.amdhsa_group_segment_fixed_size 0
		.amdhsa_private_segment_fixed_size 64
		.amdhsa_kernarg_size 280
		.amdhsa_user_sgpr_count 8
		.amdhsa_user_sgpr_private_segment_buffer 1
		.amdhsa_user_sgpr_dispatch_ptr 0
		.amdhsa_user_sgpr_queue_ptr 0
		.amdhsa_user_sgpr_kernarg_segment_ptr 1
		.amdhsa_user_sgpr_dispatch_id 0
		.amdhsa_user_sgpr_flat_scratch_init 1
		.amdhsa_user_sgpr_kernarg_preload_length 0
		.amdhsa_user_sgpr_kernarg_preload_offset 0
		.amdhsa_user_sgpr_private_segment_size 0
		.amdhsa_uses_dynamic_stack 0
		.amdhsa_system_sgpr_private_segment_wavefront_offset 1
		.amdhsa_system_sgpr_workgroup_id_x 1
		.amdhsa_system_sgpr_workgroup_id_y 0
		.amdhsa_system_sgpr_workgroup_id_z 0
		.amdhsa_system_sgpr_workgroup_info 0
		.amdhsa_system_vgpr_workitem_id 0
		.amdhsa_next_free_vgpr 51
		.amdhsa_next_free_sgpr 34
		.amdhsa_accum_offset 52
		.amdhsa_reserve_vcc 1
		.amdhsa_reserve_flat_scratch 1
		.amdhsa_float_round_mode_32 0
		.amdhsa_float_round_mode_16_64 0
		.amdhsa_float_denorm_mode_32 3
		.amdhsa_float_denorm_mode_16_64 3
		.amdhsa_dx10_clamp 1
		.amdhsa_ieee_mode 1
		.amdhsa_fp16_overflow 0
		.amdhsa_tg_split 0
		.amdhsa_exception_fp_ieee_invalid_op 0
		.amdhsa_exception_fp_denorm_src 0
		.amdhsa_exception_fp_ieee_div_zero 0
		.amdhsa_exception_fp_ieee_overflow 0
		.amdhsa_exception_fp_ieee_underflow 0
		.amdhsa_exception_fp_ieee_inexact 0
		.amdhsa_exception_int_div_zero 0
	.end_amdhsa_kernel
	.section	.text._ZN4vllm17activation_kernelIN3c104HalfETnPFT_RKS3_EXadL_ZNS_15gelu_new_kernelIS2_EES3_S5_EELb1ELb1EEEvPS3_PS4_i,"axG",@progbits,_ZN4vllm17activation_kernelIN3c104HalfETnPFT_RKS3_EXadL_ZNS_15gelu_new_kernelIS2_EES3_S5_EELb1ELb1EEEvPS3_PS4_i,comdat
.Lfunc_end60:
	.size	_ZN4vllm17activation_kernelIN3c104HalfETnPFT_RKS3_EXadL_ZNS_15gelu_new_kernelIS2_EES3_S5_EELb1ELb1EEEvPS3_PS4_i, .Lfunc_end60-_ZN4vllm17activation_kernelIN3c104HalfETnPFT_RKS3_EXadL_ZNS_15gelu_new_kernelIS2_EES3_S5_EELb1ELb1EEEvPS3_PS4_i
                                        ; -- End function
	.section	.AMDGPU.csdata,"",@progbits
; Kernel info:
; codeLenInByte = 160
; NumSgprs: 40
; NumVgprs: 51
; NumAgprs: 0
; TotalNumVgprs: 51
; ScratchSize: 64
; MemoryBound: 0
; FloatMode: 240
; IeeeMode: 1
; LDSByteSize: 0 bytes/workgroup (compile time only)
; SGPRBlocks: 4
; VGPRBlocks: 6
; NumSGPRsForWavesPerEU: 40
; NumVGPRsForWavesPerEU: 51
; AccumOffset: 52
; Occupancy: 8
; WaveLimiterHint : 1
; COMPUTE_PGM_RSRC2:SCRATCH_EN: 1
; COMPUTE_PGM_RSRC2:USER_SGPR: 8
; COMPUTE_PGM_RSRC2:TRAP_HANDLER: 0
; COMPUTE_PGM_RSRC2:TGID_X_EN: 1
; COMPUTE_PGM_RSRC2:TGID_Y_EN: 0
; COMPUTE_PGM_RSRC2:TGID_Z_EN: 0
; COMPUTE_PGM_RSRC2:TIDIG_COMP_CNT: 0
; COMPUTE_PGM_RSRC3_GFX90A:ACCUM_OFFSET: 12
; COMPUTE_PGM_RSRC3_GFX90A:TG_SPLIT: 0
	.section	.text._ZN4vllm17activation_kernelIN3c108BFloat16ETnPFT_RKS3_EXadL_ZNS_15gelu_new_kernelIS2_EES3_S5_EELb1ELb1EEEvPS3_PS4_i,"axG",@progbits,_ZN4vllm17activation_kernelIN3c108BFloat16ETnPFT_RKS3_EXadL_ZNS_15gelu_new_kernelIS2_EES3_S5_EELb1ELb1EEEvPS3_PS4_i,comdat
	.protected	_ZN4vllm17activation_kernelIN3c108BFloat16ETnPFT_RKS3_EXadL_ZNS_15gelu_new_kernelIS2_EES3_S5_EELb1ELb1EEEvPS3_PS4_i ; -- Begin function _ZN4vllm17activation_kernelIN3c108BFloat16ETnPFT_RKS3_EXadL_ZNS_15gelu_new_kernelIS2_EES3_S5_EELb1ELb1EEEvPS3_PS4_i
	.globl	_ZN4vllm17activation_kernelIN3c108BFloat16ETnPFT_RKS3_EXadL_ZNS_15gelu_new_kernelIS2_EES3_S5_EELb1ELb1EEEvPS3_PS4_i
	.p2align	8
	.type	_ZN4vllm17activation_kernelIN3c108BFloat16ETnPFT_RKS3_EXadL_ZNS_15gelu_new_kernelIS2_EES3_S5_EELb1ELb1EEEvPS3_PS4_i,@function
_ZN4vllm17activation_kernelIN3c108BFloat16ETnPFT_RKS3_EXadL_ZNS_15gelu_new_kernelIS2_EES3_S5_EELb1ELb1EEEvPS3_PS4_i: ; @_ZN4vllm17activation_kernelIN3c108BFloat16ETnPFT_RKS3_EXadL_ZNS_15gelu_new_kernelIS2_EES3_S5_EELb1ELb1EEEvPS3_PS4_i
; %bb.0:
	s_add_u32 flat_scratch_lo, s6, s9
	s_load_dword s6, s[4:5], 0x10
	s_addc_u32 flat_scratch_hi, s7, 0
	s_add_u32 s0, s0, s9
	s_addc_u32 s1, s1, 0
	s_mov_b32 s32, 0
	s_waitcnt lgkmcnt(0)
	s_ashr_i32 s7, s6, 31
	s_lshr_b32 s7, s7, 28
	s_add_i32 s6, s6, s7
	s_ashr_i32 s6, s6, 4
	v_cmp_gt_i32_e32 vcc, s6, v0
	s_and_saveexec_b64 s[6:7], vcc
	s_cbranch_execz .LBB61_2
; %bb.1:
	s_add_u32 s8, s4, 24
	s_addc_u32 s9, s5, 0
	s_getpc_b64 s[4:5]
	s_add_u32 s4, s4, .str@rel32@lo+4
	s_addc_u32 s5, s5, .str@rel32@hi+12
	s_getpc_b64 s[6:7]
	s_add_u32 s6, s6, __PRETTY_FUNCTION__._ZN4vllm5ld256ERNS_7u32x8_tEPKS0_@rel32@lo+4
	s_addc_u32 s7, s7, __PRETTY_FUNCTION__._ZN4vllm5ld256ERNS_7u32x8_tEPKS0_@rel32@hi+12
	v_mov_b32_e32 v0, s4
	v_mov_b32_e32 v1, s5
	;; [unrolled: 1-line block ×5, first 2 shown]
	s_getpc_b64 s[10:11]
	s_add_u32 s10, s10, __assert_fail@rel32@lo+4
	s_addc_u32 s11, s11, __assert_fail@rel32@hi+12
	s_swappc_b64 s[30:31], s[10:11]
	; divergent unreachable
.LBB61_2:
	s_endpgm
	.section	.rodata,"a",@progbits
	.p2align	6, 0x0
	.amdhsa_kernel _ZN4vllm17activation_kernelIN3c108BFloat16ETnPFT_RKS3_EXadL_ZNS_15gelu_new_kernelIS2_EES3_S5_EELb1ELb1EEEvPS3_PS4_i
		.amdhsa_group_segment_fixed_size 0
		.amdhsa_private_segment_fixed_size 64
		.amdhsa_kernarg_size 280
		.amdhsa_user_sgpr_count 8
		.amdhsa_user_sgpr_private_segment_buffer 1
		.amdhsa_user_sgpr_dispatch_ptr 0
		.amdhsa_user_sgpr_queue_ptr 0
		.amdhsa_user_sgpr_kernarg_segment_ptr 1
		.amdhsa_user_sgpr_dispatch_id 0
		.amdhsa_user_sgpr_flat_scratch_init 1
		.amdhsa_user_sgpr_kernarg_preload_length 0
		.amdhsa_user_sgpr_kernarg_preload_offset 0
		.amdhsa_user_sgpr_private_segment_size 0
		.amdhsa_uses_dynamic_stack 0
		.amdhsa_system_sgpr_private_segment_wavefront_offset 1
		.amdhsa_system_sgpr_workgroup_id_x 1
		.amdhsa_system_sgpr_workgroup_id_y 0
		.amdhsa_system_sgpr_workgroup_id_z 0
		.amdhsa_system_sgpr_workgroup_info 0
		.amdhsa_system_vgpr_workitem_id 0
		.amdhsa_next_free_vgpr 51
		.amdhsa_next_free_sgpr 34
		.amdhsa_accum_offset 52
		.amdhsa_reserve_vcc 1
		.amdhsa_reserve_flat_scratch 1
		.amdhsa_float_round_mode_32 0
		.amdhsa_float_round_mode_16_64 0
		.amdhsa_float_denorm_mode_32 3
		.amdhsa_float_denorm_mode_16_64 3
		.amdhsa_dx10_clamp 1
		.amdhsa_ieee_mode 1
		.amdhsa_fp16_overflow 0
		.amdhsa_tg_split 0
		.amdhsa_exception_fp_ieee_invalid_op 0
		.amdhsa_exception_fp_denorm_src 0
		.amdhsa_exception_fp_ieee_div_zero 0
		.amdhsa_exception_fp_ieee_overflow 0
		.amdhsa_exception_fp_ieee_underflow 0
		.amdhsa_exception_fp_ieee_inexact 0
		.amdhsa_exception_int_div_zero 0
	.end_amdhsa_kernel
	.section	.text._ZN4vllm17activation_kernelIN3c108BFloat16ETnPFT_RKS3_EXadL_ZNS_15gelu_new_kernelIS2_EES3_S5_EELb1ELb1EEEvPS3_PS4_i,"axG",@progbits,_ZN4vllm17activation_kernelIN3c108BFloat16ETnPFT_RKS3_EXadL_ZNS_15gelu_new_kernelIS2_EES3_S5_EELb1ELb1EEEvPS3_PS4_i,comdat
.Lfunc_end61:
	.size	_ZN4vllm17activation_kernelIN3c108BFloat16ETnPFT_RKS3_EXadL_ZNS_15gelu_new_kernelIS2_EES3_S5_EELb1ELb1EEEvPS3_PS4_i, .Lfunc_end61-_ZN4vllm17activation_kernelIN3c108BFloat16ETnPFT_RKS3_EXadL_ZNS_15gelu_new_kernelIS2_EES3_S5_EELb1ELb1EEEvPS3_PS4_i
                                        ; -- End function
	.section	.AMDGPU.csdata,"",@progbits
; Kernel info:
; codeLenInByte = 160
; NumSgprs: 40
; NumVgprs: 51
; NumAgprs: 0
; TotalNumVgprs: 51
; ScratchSize: 64
; MemoryBound: 0
; FloatMode: 240
; IeeeMode: 1
; LDSByteSize: 0 bytes/workgroup (compile time only)
; SGPRBlocks: 4
; VGPRBlocks: 6
; NumSGPRsForWavesPerEU: 40
; NumVGPRsForWavesPerEU: 51
; AccumOffset: 52
; Occupancy: 8
; WaveLimiterHint : 1
; COMPUTE_PGM_RSRC2:SCRATCH_EN: 1
; COMPUTE_PGM_RSRC2:USER_SGPR: 8
; COMPUTE_PGM_RSRC2:TRAP_HANDLER: 0
; COMPUTE_PGM_RSRC2:TGID_X_EN: 1
; COMPUTE_PGM_RSRC2:TGID_Y_EN: 0
; COMPUTE_PGM_RSRC2:TGID_Z_EN: 0
; COMPUTE_PGM_RSRC2:TIDIG_COMP_CNT: 0
; COMPUTE_PGM_RSRC3_GFX90A:ACCUM_OFFSET: 12
; COMPUTE_PGM_RSRC3_GFX90A:TG_SPLIT: 0
	.section	.text._ZN4vllm17activation_kernelIfTnPFT_RKS1_EXadL_ZNS_15gelu_new_kernelIfEES1_S3_EELb1ELb0EEEvPS1_PS2_i,"axG",@progbits,_ZN4vllm17activation_kernelIfTnPFT_RKS1_EXadL_ZNS_15gelu_new_kernelIfEES1_S3_EELb1ELb0EEEvPS1_PS2_i,comdat
	.protected	_ZN4vllm17activation_kernelIfTnPFT_RKS1_EXadL_ZNS_15gelu_new_kernelIfEES1_S3_EELb1ELb0EEEvPS1_PS2_i ; -- Begin function _ZN4vllm17activation_kernelIfTnPFT_RKS1_EXadL_ZNS_15gelu_new_kernelIfEES1_S3_EELb1ELb0EEEvPS1_PS2_i
	.globl	_ZN4vllm17activation_kernelIfTnPFT_RKS1_EXadL_ZNS_15gelu_new_kernelIfEES1_S3_EELb1ELb0EEEvPS1_PS2_i
	.p2align	8
	.type	_ZN4vllm17activation_kernelIfTnPFT_RKS1_EXadL_ZNS_15gelu_new_kernelIfEES1_S3_EELb1ELb0EEEvPS1_PS2_i,@function
_ZN4vllm17activation_kernelIfTnPFT_RKS1_EXadL_ZNS_15gelu_new_kernelIfEES1_S3_EELb1ELb0EEEvPS1_PS2_i: ; @_ZN4vllm17activation_kernelIfTnPFT_RKS1_EXadL_ZNS_15gelu_new_kernelIfEES1_S3_EELb1ELb0EEEvPS1_PS2_i
; %bb.0:
	s_load_dword s7, s[4:5], 0x10
	s_waitcnt lgkmcnt(0)
	s_ashr_i32 s0, s7, 31
	s_lshr_b32 s0, s0, 30
	s_add_i32 s0, s7, s0
	s_ashr_i32 s8, s0, 2
	v_cmp_gt_i32_e32 vcc, s8, v0
	s_and_saveexec_b64 s[0:1], vcc
	s_cbranch_execz .LBB62_19
; %bb.1:
	s_load_dword s9, s[4:5], 0x24
	s_load_dwordx4 s[0:3], s[4:5], 0x0
	s_mul_i32 s6, s6, s7
	s_mov_b32 s7, 0
	v_lshlrev_b32_e32 v1, 4, v0
	s_lshl_b64 s[4:5], s[6:7], 2
	s_waitcnt lgkmcnt(0)
	s_and_b32 s9, s9, 0xffff
	v_mov_b32_e32 v2, s5
	v_add_co_u32_e32 v6, vcc, s4, v1
	v_addc_co_u32_e32 v1, vcc, 0, v2, vcc
	s_lshl_b32 s10, s9, 4
	s_mov_b64 s[4:5], 0
	v_mov_b32_e32 v7, s3
	s_mov_b32 s3, 0x3f200000
	s_mov_b32 s11, 0x3fb8aa3b
	s_mov_b32 s12, 0xc2ce8ed0
	s_mov_b32 s13, 0x42b17218
	v_mov_b32_e32 v8, 0xbd5c1c4e
	v_mov_b32_e32 v9, 0x3e088382
	;; [unrolled: 1-line block ×3, first 2 shown]
	s_brev_b32 s14, -2
	v_mov_b32_e32 v11, s1
	v_mov_b32_e32 v12, s7
	;; [unrolled: 1-line block ×3, first 2 shown]
	s_branch .LBB62_3
.LBB62_2:                               ;   in Loop: Header=BB62_3 Depth=1
	s_or_b64 exec, exec, s[6:7]
	v_bfi_b32 v14, s14, v15, v14
	v_mul_f32_e32 v2, 0.5, v2
	v_add_f32_e32 v14, 1.0, v14
	v_mul_f32_e32 v2, v2, v14
	v_bfi_b32 v14, s14, v21, v20
	v_mul_f32_e32 v5, 0.5, v5
	v_add_f32_e32 v14, 1.0, v14
	v_mul_f32_e32 v5, v5, v14
	v_add_co_u32_e32 v14, vcc, s0, v6
	v_addc_co_u32_e32 v15, vcc, v11, v1, vcc
	v_add_u32_e32 v0, s9, v0
	v_bfi_b32 v18, s14, v19, v18
	v_bfi_b32 v16, s14, v17, v16
	v_cmp_le_i32_e32 vcc, s8, v0
	v_mul_f32_e32 v4, 0.5, v4
	v_add_f32_e32 v18, 1.0, v18
	v_mul_f32_e32 v3, 0.5, v3
	v_add_f32_e32 v16, 1.0, v16
	s_or_b64 s[4:5], vcc, s[4:5]
	v_add_co_u32_e32 v6, vcc, s10, v6
	v_mul_f32_e32 v4, v4, v18
	v_mul_f32_e32 v3, v3, v16
	v_addc_co_u32_e32 v1, vcc, v1, v12, vcc
	global_store_dwordx4 v[14:15], v[2:5], off
	s_andn2_b64 exec, exec, s[4:5]
	s_cbranch_execz .LBB62_19
.LBB62_3:                               ; =>This Inner Loop Header: Depth=1
	v_add_co_u32_e32 v2, vcc, s2, v6
	v_addc_co_u32_e32 v3, vcc, v7, v1, vcc
	global_load_dwordx4 v[2:5], v[2:3], off
	s_waitcnt vmcnt(0)
	v_mul_f32_e32 v14, v2, v2
	v_mul_f32_e32 v14, v2, v14
	v_mov_b32_e32 v15, v2
	v_fmac_f32_e32 v15, 0x3d372713, v14
	v_mul_f32_e32 v14, 0x3f4c422a, v15
	v_cmp_nlt_f32_e64 s[6:7], |v14|, s3
                                        ; implicit-def: $vgpr15
	s_and_saveexec_b64 s[16:17], s[6:7]
	s_xor_b64 s[6:7], exec, s[16:17]
	s_cbranch_execz .LBB62_5
; %bb.4:                                ;   in Loop: Header=BB62_3 Depth=1
	v_add_f32_e64 v15, |v14|, |v14|
	v_mul_f32_e32 v16, 0x3fb8aa3b, v15
	v_rndne_f32_e32 v17, v16
	v_sub_f32_e32 v18, v16, v17
	v_fma_f32 v16, v15, s11, -v16
	v_fmac_f32_e32 v16, 0x32a5705f, v15
	v_add_f32_e32 v16, v18, v16
	v_cvt_i32_f32_e32 v17, v17
	v_exp_f32_e32 v16, v16
	v_cmp_ngt_f32_e32 vcc, s12, v15
	v_ldexp_f32 v16, v16, v17
	v_cndmask_b32_e32 v16, 0, v16, vcc
	v_cmp_nlt_f32_e32 vcc, s13, v15
	v_cndmask_b32_e32 v15, v13, v16, vcc
	v_add_f32_e32 v15, 1.0, v15
	v_rcp_f32_e32 v15, v15
	v_fma_f32 v15, v15, -2.0, 1.0
.LBB62_5:                               ;   in Loop: Header=BB62_3 Depth=1
	s_andn2_saveexec_b64 s[6:7], s[6:7]
; %bb.6:                                ;   in Loop: Header=BB62_3 Depth=1
	v_mul_f32_e32 v15, v14, v14
	v_mov_b32_e32 v16, 0x3ca908c9
	v_fmac_f32_e32 v16, 0xbbbac73d, v15
	v_fma_f32 v16, v15, v16, v8
	v_fma_f32 v16, v15, v16, v9
	;; [unrolled: 1-line block ×3, first 2 shown]
	v_mul_f32_e64 v16, |v14|, v16
	v_fma_f32 v15, v15, v16, |v14|
; %bb.7:                                ;   in Loop: Header=BB62_3 Depth=1
	s_or_b64 exec, exec, s[6:7]
	v_mul_f32_e32 v16, v3, v3
	v_mul_f32_e32 v16, v3, v16
	v_mov_b32_e32 v17, v3
	v_fmac_f32_e32 v17, 0x3d372713, v16
	v_mul_f32_e32 v16, 0x3f4c422a, v17
	v_cmp_nlt_f32_e64 s[6:7], |v16|, s3
                                        ; implicit-def: $vgpr17
	s_and_saveexec_b64 s[16:17], s[6:7]
	s_xor_b64 s[6:7], exec, s[16:17]
	s_cbranch_execz .LBB62_9
; %bb.8:                                ;   in Loop: Header=BB62_3 Depth=1
	v_add_f32_e64 v17, |v16|, |v16|
	v_mul_f32_e32 v18, 0x3fb8aa3b, v17
	v_rndne_f32_e32 v19, v18
	v_sub_f32_e32 v20, v18, v19
	v_fma_f32 v18, v17, s11, -v18
	v_fmac_f32_e32 v18, 0x32a5705f, v17
	v_add_f32_e32 v18, v20, v18
	v_cvt_i32_f32_e32 v19, v19
	v_exp_f32_e32 v18, v18
	v_cmp_ngt_f32_e32 vcc, s12, v17
	v_ldexp_f32 v18, v18, v19
	v_cndmask_b32_e32 v18, 0, v18, vcc
	v_cmp_nlt_f32_e32 vcc, s13, v17
	v_cndmask_b32_e32 v17, v13, v18, vcc
	v_add_f32_e32 v17, 1.0, v17
	v_rcp_f32_e32 v17, v17
	v_fma_f32 v17, v17, -2.0, 1.0
.LBB62_9:                               ;   in Loop: Header=BB62_3 Depth=1
	s_andn2_saveexec_b64 s[6:7], s[6:7]
; %bb.10:                               ;   in Loop: Header=BB62_3 Depth=1
	v_mul_f32_e32 v17, v16, v16
	v_mov_b32_e32 v18, 0x3ca908c9
	v_fmac_f32_e32 v18, 0xbbbac73d, v17
	v_fma_f32 v18, v17, v18, v8
	v_fma_f32 v18, v17, v18, v9
	;; [unrolled: 1-line block ×3, first 2 shown]
	v_mul_f32_e64 v18, |v16|, v18
	v_fma_f32 v17, v17, v18, |v16|
; %bb.11:                               ;   in Loop: Header=BB62_3 Depth=1
	s_or_b64 exec, exec, s[6:7]
	v_mul_f32_e32 v18, v4, v4
	v_mul_f32_e32 v18, v4, v18
	v_mov_b32_e32 v19, v4
	v_fmac_f32_e32 v19, 0x3d372713, v18
	v_mul_f32_e32 v18, 0x3f4c422a, v19
	v_cmp_nlt_f32_e64 s[6:7], |v18|, s3
                                        ; implicit-def: $vgpr19
	s_and_saveexec_b64 s[16:17], s[6:7]
	s_xor_b64 s[6:7], exec, s[16:17]
	s_cbranch_execz .LBB62_13
; %bb.12:                               ;   in Loop: Header=BB62_3 Depth=1
	v_add_f32_e64 v19, |v18|, |v18|
	v_mul_f32_e32 v20, 0x3fb8aa3b, v19
	v_rndne_f32_e32 v21, v20
	v_sub_f32_e32 v22, v20, v21
	v_fma_f32 v20, v19, s11, -v20
	v_fmac_f32_e32 v20, 0x32a5705f, v19
	v_add_f32_e32 v20, v22, v20
	v_cvt_i32_f32_e32 v21, v21
	v_exp_f32_e32 v20, v20
	v_cmp_ngt_f32_e32 vcc, s12, v19
	v_ldexp_f32 v20, v20, v21
	v_cndmask_b32_e32 v20, 0, v20, vcc
	v_cmp_nlt_f32_e32 vcc, s13, v19
	v_cndmask_b32_e32 v19, v13, v20, vcc
	v_add_f32_e32 v19, 1.0, v19
	v_rcp_f32_e32 v19, v19
	v_fma_f32 v19, v19, -2.0, 1.0
.LBB62_13:                              ;   in Loop: Header=BB62_3 Depth=1
	s_andn2_saveexec_b64 s[6:7], s[6:7]
; %bb.14:                               ;   in Loop: Header=BB62_3 Depth=1
	v_mul_f32_e32 v19, v18, v18
	v_mov_b32_e32 v20, 0x3ca908c9
	v_fmac_f32_e32 v20, 0xbbbac73d, v19
	v_fma_f32 v20, v19, v20, v8
	v_fma_f32 v20, v19, v20, v9
	;; [unrolled: 1-line block ×3, first 2 shown]
	v_mul_f32_e64 v20, |v18|, v20
	v_fma_f32 v19, v19, v20, |v18|
; %bb.15:                               ;   in Loop: Header=BB62_3 Depth=1
	s_or_b64 exec, exec, s[6:7]
	v_mul_f32_e32 v20, v5, v5
	v_mul_f32_e32 v20, v5, v20
	v_mov_b32_e32 v21, v5
	v_fmac_f32_e32 v21, 0x3d372713, v20
	v_mul_f32_e32 v20, 0x3f4c422a, v21
	v_cmp_nlt_f32_e64 s[6:7], |v20|, s3
                                        ; implicit-def: $vgpr21
	s_and_saveexec_b64 s[16:17], s[6:7]
	s_xor_b64 s[6:7], exec, s[16:17]
	s_cbranch_execz .LBB62_17
; %bb.16:                               ;   in Loop: Header=BB62_3 Depth=1
	v_add_f32_e64 v21, |v20|, |v20|
	v_mul_f32_e32 v22, 0x3fb8aa3b, v21
	v_rndne_f32_e32 v23, v22
	v_sub_f32_e32 v24, v22, v23
	v_fma_f32 v22, v21, s11, -v22
	v_fmac_f32_e32 v22, 0x32a5705f, v21
	v_add_f32_e32 v22, v24, v22
	v_cvt_i32_f32_e32 v23, v23
	v_exp_f32_e32 v22, v22
	v_cmp_ngt_f32_e32 vcc, s12, v21
	v_ldexp_f32 v22, v22, v23
	v_cndmask_b32_e32 v22, 0, v22, vcc
	v_cmp_nlt_f32_e32 vcc, s13, v21
	v_cndmask_b32_e32 v21, v13, v22, vcc
	v_add_f32_e32 v21, 1.0, v21
	v_rcp_f32_e32 v21, v21
	v_fma_f32 v21, v21, -2.0, 1.0
.LBB62_17:                              ;   in Loop: Header=BB62_3 Depth=1
	s_andn2_saveexec_b64 s[6:7], s[6:7]
	s_cbranch_execz .LBB62_2
; %bb.18:                               ;   in Loop: Header=BB62_3 Depth=1
	v_mul_f32_e32 v21, v20, v20
	v_mov_b32_e32 v22, 0x3ca908c9
	v_fmac_f32_e32 v22, 0xbbbac73d, v21
	v_fma_f32 v22, v21, v22, v8
	v_fma_f32 v22, v21, v22, v9
	;; [unrolled: 1-line block ×3, first 2 shown]
	v_mul_f32_e64 v22, |v20|, v22
	v_fma_f32 v21, v21, v22, |v20|
	s_branch .LBB62_2
.LBB62_19:
	s_endpgm
	.section	.rodata,"a",@progbits
	.p2align	6, 0x0
	.amdhsa_kernel _ZN4vllm17activation_kernelIfTnPFT_RKS1_EXadL_ZNS_15gelu_new_kernelIfEES1_S3_EELb1ELb0EEEvPS1_PS2_i
		.amdhsa_group_segment_fixed_size 0
		.amdhsa_private_segment_fixed_size 0
		.amdhsa_kernarg_size 280
		.amdhsa_user_sgpr_count 6
		.amdhsa_user_sgpr_private_segment_buffer 1
		.amdhsa_user_sgpr_dispatch_ptr 0
		.amdhsa_user_sgpr_queue_ptr 0
		.amdhsa_user_sgpr_kernarg_segment_ptr 1
		.amdhsa_user_sgpr_dispatch_id 0
		.amdhsa_user_sgpr_flat_scratch_init 0
		.amdhsa_user_sgpr_kernarg_preload_length 0
		.amdhsa_user_sgpr_kernarg_preload_offset 0
		.amdhsa_user_sgpr_private_segment_size 0
		.amdhsa_uses_dynamic_stack 0
		.amdhsa_system_sgpr_private_segment_wavefront_offset 0
		.amdhsa_system_sgpr_workgroup_id_x 1
		.amdhsa_system_sgpr_workgroup_id_y 0
		.amdhsa_system_sgpr_workgroup_id_z 0
		.amdhsa_system_sgpr_workgroup_info 0
		.amdhsa_system_vgpr_workitem_id 0
		.amdhsa_next_free_vgpr 25
		.amdhsa_next_free_sgpr 18
		.amdhsa_accum_offset 28
		.amdhsa_reserve_vcc 1
		.amdhsa_reserve_flat_scratch 0
		.amdhsa_float_round_mode_32 0
		.amdhsa_float_round_mode_16_64 0
		.amdhsa_float_denorm_mode_32 3
		.amdhsa_float_denorm_mode_16_64 3
		.amdhsa_dx10_clamp 1
		.amdhsa_ieee_mode 1
		.amdhsa_fp16_overflow 0
		.amdhsa_tg_split 0
		.amdhsa_exception_fp_ieee_invalid_op 0
		.amdhsa_exception_fp_denorm_src 0
		.amdhsa_exception_fp_ieee_div_zero 0
		.amdhsa_exception_fp_ieee_overflow 0
		.amdhsa_exception_fp_ieee_underflow 0
		.amdhsa_exception_fp_ieee_inexact 0
		.amdhsa_exception_int_div_zero 0
	.end_amdhsa_kernel
	.section	.text._ZN4vllm17activation_kernelIfTnPFT_RKS1_EXadL_ZNS_15gelu_new_kernelIfEES1_S3_EELb1ELb0EEEvPS1_PS2_i,"axG",@progbits,_ZN4vllm17activation_kernelIfTnPFT_RKS1_EXadL_ZNS_15gelu_new_kernelIfEES1_S3_EELb1ELb0EEEvPS1_PS2_i,comdat
.Lfunc_end62:
	.size	_ZN4vllm17activation_kernelIfTnPFT_RKS1_EXadL_ZNS_15gelu_new_kernelIfEES1_S3_EELb1ELb0EEEvPS1_PS2_i, .Lfunc_end62-_ZN4vllm17activation_kernelIfTnPFT_RKS1_EXadL_ZNS_15gelu_new_kernelIfEES1_S3_EELb1ELb0EEEvPS1_PS2_i
                                        ; -- End function
	.section	.AMDGPU.csdata,"",@progbits
; Kernel info:
; codeLenInByte = 1176
; NumSgprs: 22
; NumVgprs: 25
; NumAgprs: 0
; TotalNumVgprs: 25
; ScratchSize: 0
; MemoryBound: 0
; FloatMode: 240
; IeeeMode: 1
; LDSByteSize: 0 bytes/workgroup (compile time only)
; SGPRBlocks: 2
; VGPRBlocks: 3
; NumSGPRsForWavesPerEU: 22
; NumVGPRsForWavesPerEU: 25
; AccumOffset: 28
; Occupancy: 8
; WaveLimiterHint : 0
; COMPUTE_PGM_RSRC2:SCRATCH_EN: 0
; COMPUTE_PGM_RSRC2:USER_SGPR: 6
; COMPUTE_PGM_RSRC2:TRAP_HANDLER: 0
; COMPUTE_PGM_RSRC2:TGID_X_EN: 1
; COMPUTE_PGM_RSRC2:TGID_Y_EN: 0
; COMPUTE_PGM_RSRC2:TGID_Z_EN: 0
; COMPUTE_PGM_RSRC2:TIDIG_COMP_CNT: 0
; COMPUTE_PGM_RSRC3_GFX90A:ACCUM_OFFSET: 6
; COMPUTE_PGM_RSRC3_GFX90A:TG_SPLIT: 0
	.section	.text._ZN4vllm17activation_kernelIN3c104HalfETnPFT_RKS3_EXadL_ZNS_15gelu_new_kernelIS2_EES3_S5_EELb1ELb0EEEvPS3_PS4_i,"axG",@progbits,_ZN4vllm17activation_kernelIN3c104HalfETnPFT_RKS3_EXadL_ZNS_15gelu_new_kernelIS2_EES3_S5_EELb1ELb0EEEvPS3_PS4_i,comdat
	.protected	_ZN4vllm17activation_kernelIN3c104HalfETnPFT_RKS3_EXadL_ZNS_15gelu_new_kernelIS2_EES3_S5_EELb1ELb0EEEvPS3_PS4_i ; -- Begin function _ZN4vllm17activation_kernelIN3c104HalfETnPFT_RKS3_EXadL_ZNS_15gelu_new_kernelIS2_EES3_S5_EELb1ELb0EEEvPS3_PS4_i
	.globl	_ZN4vllm17activation_kernelIN3c104HalfETnPFT_RKS3_EXadL_ZNS_15gelu_new_kernelIS2_EES3_S5_EELb1ELb0EEEvPS3_PS4_i
	.p2align	8
	.type	_ZN4vllm17activation_kernelIN3c104HalfETnPFT_RKS3_EXadL_ZNS_15gelu_new_kernelIS2_EES3_S5_EELb1ELb0EEEvPS3_PS4_i,@function
_ZN4vllm17activation_kernelIN3c104HalfETnPFT_RKS3_EXadL_ZNS_15gelu_new_kernelIS2_EES3_S5_EELb1ELb0EEEvPS3_PS4_i: ; @_ZN4vllm17activation_kernelIN3c104HalfETnPFT_RKS3_EXadL_ZNS_15gelu_new_kernelIS2_EES3_S5_EELb1ELb0EEEvPS3_PS4_i
; %bb.0:
	s_load_dword s0, s[4:5], 0x10
	s_waitcnt lgkmcnt(0)
	s_ashr_i32 s1, s0, 31
	s_lshr_b32 s1, s1, 29
	s_add_i32 s1, s0, s1
	s_ashr_i32 s8, s1, 3
	v_cmp_gt_i32_e32 vcc, s8, v0
	s_and_saveexec_b64 s[2:3], vcc
	s_cbranch_execz .LBB63_35
; %bb.1:
	s_load_dword s7, s[4:5], 0x24
	s_load_dwordx4 s[12:15], s[4:5], 0x0
	v_lshlrev_b32_e32 v2, 4, v0
	s_mul_i32 s0, s6, s0
	s_mov_b32 s1, 0
	s_lshl_b64 s[2:3], s[0:1], 1
	s_waitcnt lgkmcnt(0)
	v_mov_b32_e32 v1, s13
	v_add_co_u32_e32 v6, vcc, s12, v2
	v_addc_co_u32_e32 v1, vcc, 0, v1, vcc
	s_and_b32 s0, s7, 0xffff
	v_mov_b32_e32 v3, s15
	v_add_co_u32_e32 v8, vcc, s14, v2
	s_lshl_b32 s9, s0, 4
	v_addc_co_u32_e32 v7, vcc, 0, v3, vcc
	s_mov_b64 s[4:5], 0
	v_mov_b32_e32 v9, s3
	s_mov_b32 s10, 0x3d372713
	s_mov_b32 s11, 0x3f4c422a
	s_mov_b32 s12, 0x3f200000
	s_mov_b32 s13, 0x3fb8aa3b
	s_mov_b32 s14, 0xc2ce8ed0
	s_mov_b32 s15, 0x42b17218
	v_mov_b32_e32 v10, 0xbd5c1c4e
	v_mov_b32_e32 v11, 0x3e088382
	;; [unrolled: 1-line block ×3, first 2 shown]
	s_movk_i32 s16, 0x7fff
	v_mov_b32_e32 v13, 0x7f800000
	v_mov_b32_e32 v14, 0x3800
	s_branch .LBB63_3
.LBB63_2:                               ;   in Loop: Header=BB63_3 Depth=1
	s_or_b64 exec, exec, s[6:7]
	v_cvt_f16_f32_e32 v16, v16
	v_cvt_f16_f32_e32 v18, v18
	v_lshrrev_b32_e32 v15, 16, v15
	v_cvt_f16_f32_e32 v29, v29
	v_cvt_f16_f32_e32 v26, v26
	;; [unrolled: 1-line block ×5, first 2 shown]
	v_bfi_b32 v15, s16, v16, v15
	v_cvt_f16_f32_e32 v16, v30
	v_lshrrev_b32_e32 v17, 16, v17
	v_bfi_b32 v17, s16, v18, v17
	v_mul_f16_sdwa v18, v2, v14 dst_sel:DWORD dst_unused:UNUSED_PAD src0_sel:WORD_1 src1_sel:DWORD
	v_mul_f16_e32 v2, 0.5, v2
	v_add_f16_e32 v15, 1.0, v15
	v_lshrrev_b32_e32 v28, 16, v28
	v_lshrrev_b32_e32 v25, 16, v25
	;; [unrolled: 1-line block ×5, first 2 shown]
	v_mul_f16_e32 v2, v2, v15
	v_lshrrev_b32_e32 v15, 16, v27
	v_bfi_b32 v28, s16, v29, v28
	v_bfi_b32 v25, s16, v26, v25
	;; [unrolled: 1-line block ×6, first 2 shown]
	v_mul_f16_e32 v31, 0.5, v5
	v_add_f16_e32 v28, 1.0, v28
	v_mul_f16_sdwa v26, v4, v14 dst_sel:DWORD dst_unused:UNUSED_PAD src0_sel:WORD_1 src1_sel:DWORD
	v_add_f16_e32 v25, 1.0, v25
	v_mul_f16_e32 v4, 0.5, v4
	v_add_f16_e32 v23, 1.0, v23
	v_mul_f16_sdwa v22, v3, v14 dst_sel:DWORD dst_unused:UNUSED_PAD src0_sel:WORD_1 src1_sel:DWORD
	v_add_f16_e32 v21, 1.0, v21
	v_mul_f16_e32 v3, 0.5, v3
	v_add_f16_e32 v19, 1.0, v19
	v_add_f16_e32 v17, 1.0, v17
	v_mul_f16_sdwa v5, v5, v14 dst_sel:DWORD dst_unused:UNUSED_PAD src0_sel:WORD_1 src1_sel:DWORD
	v_add_f16_e32 v15, 1.0, v15
	v_mul_f16_e32 v28, v31, v28
	v_mul_f16_e32 v25, v26, v25
	;; [unrolled: 1-line block ×7, first 2 shown]
	v_mov_b32_e32 v15, s3
	v_add_co_u32_e32 v16, vcc, s2, v6
	v_addc_co_u32_e32 v17, vcc, v1, v15, vcc
	v_pack_b32_f16 v5, v28, v5
	v_pack_b32_f16 v4, v4, v25
	;; [unrolled: 1-line block ×4, first 2 shown]
	global_store_dwordx4 v[16:17], v[2:5], off
	v_add_co_u32_e32 v6, vcc, s9, v6
	v_mov_b32_e32 v2, s1
	v_add_u32_e32 v0, s0, v0
	v_addc_co_u32_e32 v1, vcc, v1, v2, vcc
	v_cmp_le_i32_e32 vcc, s8, v0
	s_or_b64 s[4:5], vcc, s[4:5]
	v_add_co_u32_e32 v8, vcc, s9, v8
	v_addc_co_u32_e32 v7, vcc, v7, v2, vcc
	s_andn2_b64 exec, exec, s[4:5]
	s_cbranch_execz .LBB63_35
.LBB63_3:                               ; =>This Inner Loop Header: Depth=1
	v_add_co_u32_e32 v2, vcc, s2, v8
	v_addc_co_u32_e32 v3, vcc, v7, v9, vcc
	global_load_dwordx4 v[2:5], v[2:3], off
                                        ; implicit-def: $vgpr16
	s_waitcnt vmcnt(0)
	v_mul_f16_e32 v15, v2, v2
	v_mul_f16_e32 v15, v2, v15
	v_fma_mixlo_f16 v15, v15, s10, 0 op_sel_hi:[1,0,0]
	v_add_f16_e32 v15, v2, v15
	v_fma_mixlo_f16 v15, v15, s11, 0 op_sel_hi:[1,0,0]
	v_cvt_f32_f16_e32 v15, v15
	v_cmp_nlt_f32_e64 s[6:7], |v15|, s12
	s_and_saveexec_b64 s[18:19], s[6:7]
	s_xor_b64 s[6:7], exec, s[18:19]
	s_cbranch_execz .LBB63_5
; %bb.4:                                ;   in Loop: Header=BB63_3 Depth=1
	v_add_f32_e64 v16, |v15|, |v15|
	v_mul_f32_e32 v17, 0x3fb8aa3b, v16
	v_rndne_f32_e32 v18, v17
	v_sub_f32_e32 v19, v17, v18
	v_fma_f32 v17, v16, s13, -v17
	v_fmac_f32_e32 v17, 0x32a5705f, v16
	v_add_f32_e32 v17, v19, v17
	v_cvt_i32_f32_e32 v18, v18
	v_exp_f32_e32 v17, v17
	v_cmp_ngt_f32_e32 vcc, s14, v16
	v_ldexp_f32 v17, v17, v18
	v_cndmask_b32_e32 v17, 0, v17, vcc
	v_cmp_nlt_f32_e32 vcc, s15, v16
	v_cndmask_b32_e32 v16, v13, v17, vcc
	v_add_f32_e32 v16, 1.0, v16
	v_rcp_f32_e32 v16, v16
	v_fma_f32 v16, v16, -2.0, 1.0
.LBB63_5:                               ;   in Loop: Header=BB63_3 Depth=1
	s_andn2_saveexec_b64 s[6:7], s[6:7]
; %bb.6:                                ;   in Loop: Header=BB63_3 Depth=1
	v_mul_f32_e32 v16, v15, v15
	v_mov_b32_e32 v17, 0x3ca908c9
	v_fmac_f32_e32 v17, 0xbbbac73d, v16
	v_fma_f32 v17, v16, v17, v10
	v_fma_f32 v17, v16, v17, v11
	;; [unrolled: 1-line block ×3, first 2 shown]
	v_mul_f32_e64 v17, |v15|, v17
	v_fma_f32 v16, v16, v17, |v15|
; %bb.7:                                ;   in Loop: Header=BB63_3 Depth=1
	s_or_b64 exec, exec, s[6:7]
	v_mul_f16_sdwa v17, v2, v2 dst_sel:DWORD dst_unused:UNUSED_PAD src0_sel:WORD_1 src1_sel:WORD_1
	v_mul_f16_sdwa v17, v2, v17 dst_sel:DWORD dst_unused:UNUSED_PAD src0_sel:WORD_1 src1_sel:DWORD
	v_fma_mixlo_f16 v17, v17, s10, 0 op_sel_hi:[1,0,0]
	v_add_f16_sdwa v17, v2, v17 dst_sel:DWORD dst_unused:UNUSED_PAD src0_sel:WORD_1 src1_sel:DWORD
	v_fma_mixlo_f16 v17, v17, s11, 0 op_sel_hi:[1,0,0]
	v_cvt_f32_f16_e32 v17, v17
                                        ; implicit-def: $vgpr18
	v_cmp_nlt_f32_e64 s[6:7], |v17|, s12
	s_and_saveexec_b64 s[18:19], s[6:7]
	s_xor_b64 s[6:7], exec, s[18:19]
	s_cbranch_execz .LBB63_9
; %bb.8:                                ;   in Loop: Header=BB63_3 Depth=1
	v_add_f32_e64 v18, |v17|, |v17|
	v_mul_f32_e32 v19, 0x3fb8aa3b, v18
	v_rndne_f32_e32 v20, v19
	v_sub_f32_e32 v21, v19, v20
	v_fma_f32 v19, v18, s13, -v19
	v_fmac_f32_e32 v19, 0x32a5705f, v18
	v_add_f32_e32 v19, v21, v19
	v_cvt_i32_f32_e32 v20, v20
	v_exp_f32_e32 v19, v19
	v_cmp_ngt_f32_e32 vcc, s14, v18
	v_ldexp_f32 v19, v19, v20
	v_cndmask_b32_e32 v19, 0, v19, vcc
	v_cmp_nlt_f32_e32 vcc, s15, v18
	v_cndmask_b32_e32 v18, v13, v19, vcc
	v_add_f32_e32 v18, 1.0, v18
	v_rcp_f32_e32 v18, v18
	v_fma_f32 v18, v18, -2.0, 1.0
.LBB63_9:                               ;   in Loop: Header=BB63_3 Depth=1
	s_andn2_saveexec_b64 s[6:7], s[6:7]
; %bb.10:                               ;   in Loop: Header=BB63_3 Depth=1
	v_mul_f32_e32 v18, v17, v17
	v_mov_b32_e32 v19, 0x3ca908c9
	v_fmac_f32_e32 v19, 0xbbbac73d, v18
	v_fma_f32 v19, v18, v19, v10
	v_fma_f32 v19, v18, v19, v11
	;; [unrolled: 1-line block ×3, first 2 shown]
	v_mul_f32_e64 v19, |v17|, v19
	v_fma_f32 v18, v18, v19, |v17|
; %bb.11:                               ;   in Loop: Header=BB63_3 Depth=1
	s_or_b64 exec, exec, s[6:7]
	v_mul_f16_e32 v19, v3, v3
	v_mul_f16_e32 v19, v3, v19
	v_fma_mixlo_f16 v19, v19, s10, 0 op_sel_hi:[1,0,0]
	v_add_f16_e32 v19, v3, v19
	v_fma_mixlo_f16 v19, v19, s11, 0 op_sel_hi:[1,0,0]
	v_cvt_f32_f16_e32 v19, v19
                                        ; implicit-def: $vgpr20
	v_cmp_nlt_f32_e64 s[6:7], |v19|, s12
	s_and_saveexec_b64 s[18:19], s[6:7]
	s_xor_b64 s[6:7], exec, s[18:19]
	s_cbranch_execz .LBB63_13
; %bb.12:                               ;   in Loop: Header=BB63_3 Depth=1
	v_add_f32_e64 v20, |v19|, |v19|
	v_mul_f32_e32 v21, 0x3fb8aa3b, v20
	v_rndne_f32_e32 v22, v21
	v_sub_f32_e32 v23, v21, v22
	v_fma_f32 v21, v20, s13, -v21
	v_fmac_f32_e32 v21, 0x32a5705f, v20
	v_add_f32_e32 v21, v23, v21
	v_cvt_i32_f32_e32 v22, v22
	v_exp_f32_e32 v21, v21
	v_cmp_ngt_f32_e32 vcc, s14, v20
	v_ldexp_f32 v21, v21, v22
	v_cndmask_b32_e32 v21, 0, v21, vcc
	v_cmp_nlt_f32_e32 vcc, s15, v20
	v_cndmask_b32_e32 v20, v13, v21, vcc
	v_add_f32_e32 v20, 1.0, v20
	v_rcp_f32_e32 v20, v20
	v_fma_f32 v20, v20, -2.0, 1.0
.LBB63_13:                              ;   in Loop: Header=BB63_3 Depth=1
	s_andn2_saveexec_b64 s[6:7], s[6:7]
; %bb.14:                               ;   in Loop: Header=BB63_3 Depth=1
	v_mul_f32_e32 v20, v19, v19
	v_mov_b32_e32 v21, 0x3ca908c9
	v_fmac_f32_e32 v21, 0xbbbac73d, v20
	v_fma_f32 v21, v20, v21, v10
	v_fma_f32 v21, v20, v21, v11
	v_fma_f32 v21, v20, v21, v12
	v_mul_f32_e64 v21, |v19|, v21
	v_fma_f32 v20, v20, v21, |v19|
; %bb.15:                               ;   in Loop: Header=BB63_3 Depth=1
	s_or_b64 exec, exec, s[6:7]
	v_mul_f16_sdwa v21, v3, v3 dst_sel:DWORD dst_unused:UNUSED_PAD src0_sel:WORD_1 src1_sel:WORD_1
	v_mul_f16_sdwa v21, v3, v21 dst_sel:DWORD dst_unused:UNUSED_PAD src0_sel:WORD_1 src1_sel:DWORD
	v_fma_mixlo_f16 v21, v21, s10, 0 op_sel_hi:[1,0,0]
	v_add_f16_sdwa v21, v3, v21 dst_sel:DWORD dst_unused:UNUSED_PAD src0_sel:WORD_1 src1_sel:DWORD
	v_fma_mixlo_f16 v21, v21, s11, 0 op_sel_hi:[1,0,0]
	v_cvt_f32_f16_e32 v21, v21
                                        ; implicit-def: $vgpr22
	v_cmp_nlt_f32_e64 s[6:7], |v21|, s12
	s_and_saveexec_b64 s[18:19], s[6:7]
	s_xor_b64 s[6:7], exec, s[18:19]
	s_cbranch_execz .LBB63_17
; %bb.16:                               ;   in Loop: Header=BB63_3 Depth=1
	v_add_f32_e64 v22, |v21|, |v21|
	v_mul_f32_e32 v23, 0x3fb8aa3b, v22
	v_rndne_f32_e32 v24, v23
	v_sub_f32_e32 v25, v23, v24
	v_fma_f32 v23, v22, s13, -v23
	v_fmac_f32_e32 v23, 0x32a5705f, v22
	v_add_f32_e32 v23, v25, v23
	v_cvt_i32_f32_e32 v24, v24
	v_exp_f32_e32 v23, v23
	v_cmp_ngt_f32_e32 vcc, s14, v22
	v_ldexp_f32 v23, v23, v24
	v_cndmask_b32_e32 v23, 0, v23, vcc
	v_cmp_nlt_f32_e32 vcc, s15, v22
	v_cndmask_b32_e32 v22, v13, v23, vcc
	v_add_f32_e32 v22, 1.0, v22
	v_rcp_f32_e32 v22, v22
	v_fma_f32 v22, v22, -2.0, 1.0
.LBB63_17:                              ;   in Loop: Header=BB63_3 Depth=1
	s_andn2_saveexec_b64 s[6:7], s[6:7]
; %bb.18:                               ;   in Loop: Header=BB63_3 Depth=1
	v_mul_f32_e32 v22, v21, v21
	v_mov_b32_e32 v23, 0x3ca908c9
	v_fmac_f32_e32 v23, 0xbbbac73d, v22
	v_fma_f32 v23, v22, v23, v10
	v_fma_f32 v23, v22, v23, v11
	;; [unrolled: 1-line block ×3, first 2 shown]
	v_mul_f32_e64 v23, |v21|, v23
	v_fma_f32 v22, v22, v23, |v21|
; %bb.19:                               ;   in Loop: Header=BB63_3 Depth=1
	s_or_b64 exec, exec, s[6:7]
	v_mul_f16_e32 v23, v4, v4
	v_mul_f16_e32 v23, v4, v23
	v_fma_mixlo_f16 v23, v23, s10, 0 op_sel_hi:[1,0,0]
	v_add_f16_e32 v23, v4, v23
	v_fma_mixlo_f16 v23, v23, s11, 0 op_sel_hi:[1,0,0]
	v_cvt_f32_f16_e32 v23, v23
                                        ; implicit-def: $vgpr24
	v_cmp_nlt_f32_e64 s[6:7], |v23|, s12
	s_and_saveexec_b64 s[18:19], s[6:7]
	s_xor_b64 s[6:7], exec, s[18:19]
	s_cbranch_execz .LBB63_21
; %bb.20:                               ;   in Loop: Header=BB63_3 Depth=1
	v_add_f32_e64 v24, |v23|, |v23|
	v_mul_f32_e32 v25, 0x3fb8aa3b, v24
	v_rndne_f32_e32 v26, v25
	v_sub_f32_e32 v27, v25, v26
	v_fma_f32 v25, v24, s13, -v25
	v_fmac_f32_e32 v25, 0x32a5705f, v24
	v_add_f32_e32 v25, v27, v25
	v_cvt_i32_f32_e32 v26, v26
	v_exp_f32_e32 v25, v25
	v_cmp_ngt_f32_e32 vcc, s14, v24
	v_ldexp_f32 v25, v25, v26
	v_cndmask_b32_e32 v25, 0, v25, vcc
	v_cmp_nlt_f32_e32 vcc, s15, v24
	v_cndmask_b32_e32 v24, v13, v25, vcc
	v_add_f32_e32 v24, 1.0, v24
	v_rcp_f32_e32 v24, v24
	v_fma_f32 v24, v24, -2.0, 1.0
.LBB63_21:                              ;   in Loop: Header=BB63_3 Depth=1
	s_andn2_saveexec_b64 s[6:7], s[6:7]
; %bb.22:                               ;   in Loop: Header=BB63_3 Depth=1
	v_mul_f32_e32 v24, v23, v23
	v_mov_b32_e32 v25, 0x3ca908c9
	v_fmac_f32_e32 v25, 0xbbbac73d, v24
	v_fma_f32 v25, v24, v25, v10
	v_fma_f32 v25, v24, v25, v11
	;; [unrolled: 1-line block ×3, first 2 shown]
	v_mul_f32_e64 v25, |v23|, v25
	v_fma_f32 v24, v24, v25, |v23|
; %bb.23:                               ;   in Loop: Header=BB63_3 Depth=1
	s_or_b64 exec, exec, s[6:7]
	v_mul_f16_sdwa v25, v4, v4 dst_sel:DWORD dst_unused:UNUSED_PAD src0_sel:WORD_1 src1_sel:WORD_1
	v_mul_f16_sdwa v25, v4, v25 dst_sel:DWORD dst_unused:UNUSED_PAD src0_sel:WORD_1 src1_sel:DWORD
	v_fma_mixlo_f16 v25, v25, s10, 0 op_sel_hi:[1,0,0]
	v_add_f16_sdwa v25, v4, v25 dst_sel:DWORD dst_unused:UNUSED_PAD src0_sel:WORD_1 src1_sel:DWORD
	v_fma_mixlo_f16 v25, v25, s11, 0 op_sel_hi:[1,0,0]
	v_cvt_f32_f16_e32 v25, v25
                                        ; implicit-def: $vgpr26
	v_cmp_nlt_f32_e64 s[6:7], |v25|, s12
	s_and_saveexec_b64 s[18:19], s[6:7]
	s_xor_b64 s[6:7], exec, s[18:19]
	s_cbranch_execz .LBB63_25
; %bb.24:                               ;   in Loop: Header=BB63_3 Depth=1
	v_add_f32_e64 v26, |v25|, |v25|
	v_mul_f32_e32 v27, 0x3fb8aa3b, v26
	v_rndne_f32_e32 v28, v27
	v_sub_f32_e32 v29, v27, v28
	v_fma_f32 v27, v26, s13, -v27
	v_fmac_f32_e32 v27, 0x32a5705f, v26
	v_add_f32_e32 v27, v29, v27
	v_cvt_i32_f32_e32 v28, v28
	v_exp_f32_e32 v27, v27
	v_cmp_ngt_f32_e32 vcc, s14, v26
	v_ldexp_f32 v27, v27, v28
	v_cndmask_b32_e32 v27, 0, v27, vcc
	v_cmp_nlt_f32_e32 vcc, s15, v26
	v_cndmask_b32_e32 v26, v13, v27, vcc
	v_add_f32_e32 v26, 1.0, v26
	v_rcp_f32_e32 v26, v26
	v_fma_f32 v26, v26, -2.0, 1.0
.LBB63_25:                              ;   in Loop: Header=BB63_3 Depth=1
	s_andn2_saveexec_b64 s[6:7], s[6:7]
; %bb.26:                               ;   in Loop: Header=BB63_3 Depth=1
	v_mul_f32_e32 v26, v25, v25
	v_mov_b32_e32 v27, 0x3ca908c9
	v_fmac_f32_e32 v27, 0xbbbac73d, v26
	v_fma_f32 v27, v26, v27, v10
	v_fma_f32 v27, v26, v27, v11
	;; [unrolled: 1-line block ×3, first 2 shown]
	v_mul_f32_e64 v27, |v25|, v27
	v_fma_f32 v26, v26, v27, |v25|
; %bb.27:                               ;   in Loop: Header=BB63_3 Depth=1
	s_or_b64 exec, exec, s[6:7]
	v_mul_f16_e32 v27, v5, v5
	v_mul_f16_e32 v27, v5, v27
	v_fma_mixlo_f16 v27, v27, s10, 0 op_sel_hi:[1,0,0]
	v_add_f16_e32 v27, v5, v27
	v_fma_mixlo_f16 v27, v27, s11, 0 op_sel_hi:[1,0,0]
	v_cvt_f32_f16_e32 v28, v27
                                        ; implicit-def: $vgpr29
	v_cmp_nlt_f32_e64 s[6:7], |v28|, s12
	s_and_saveexec_b64 s[18:19], s[6:7]
	s_xor_b64 s[6:7], exec, s[18:19]
	s_cbranch_execz .LBB63_29
; %bb.28:                               ;   in Loop: Header=BB63_3 Depth=1
	v_add_f32_e64 v27, |v28|, |v28|
	v_mul_f32_e32 v29, 0x3fb8aa3b, v27
	v_rndne_f32_e32 v30, v29
	v_sub_f32_e32 v31, v29, v30
	v_fma_f32 v29, v27, s13, -v29
	v_fmac_f32_e32 v29, 0x32a5705f, v27
	v_add_f32_e32 v29, v31, v29
	v_cvt_i32_f32_e32 v30, v30
	v_exp_f32_e32 v29, v29
	v_cmp_ngt_f32_e32 vcc, s14, v27
	v_ldexp_f32 v29, v29, v30
	v_cndmask_b32_e32 v29, 0, v29, vcc
	v_cmp_nlt_f32_e32 vcc, s15, v27
	v_cndmask_b32_e32 v27, v13, v29, vcc
	v_add_f32_e32 v27, 1.0, v27
	v_rcp_f32_e32 v27, v27
	v_fma_f32 v29, v27, -2.0, 1.0
.LBB63_29:                              ;   in Loop: Header=BB63_3 Depth=1
	s_andn2_saveexec_b64 s[6:7], s[6:7]
; %bb.30:                               ;   in Loop: Header=BB63_3 Depth=1
	v_mul_f32_e32 v27, v28, v28
	v_mov_b32_e32 v29, 0x3ca908c9
	v_fmac_f32_e32 v29, 0xbbbac73d, v27
	v_fma_f32 v29, v27, v29, v10
	v_fma_f32 v29, v27, v29, v11
	;; [unrolled: 1-line block ×3, first 2 shown]
	v_mul_f32_e64 v29, |v28|, v29
	v_fma_f32 v29, v27, v29, |v28|
; %bb.31:                               ;   in Loop: Header=BB63_3 Depth=1
	s_or_b64 exec, exec, s[6:7]
	v_mul_f16_sdwa v27, v5, v5 dst_sel:DWORD dst_unused:UNUSED_PAD src0_sel:WORD_1 src1_sel:WORD_1
	v_mul_f16_sdwa v27, v5, v27 dst_sel:DWORD dst_unused:UNUSED_PAD src0_sel:WORD_1 src1_sel:DWORD
	v_fma_mixlo_f16 v27, v27, s10, 0 op_sel_hi:[1,0,0]
	v_add_f16_sdwa v27, v5, v27 dst_sel:DWORD dst_unused:UNUSED_PAD src0_sel:WORD_1 src1_sel:DWORD
	v_fma_mixlo_f16 v27, v27, s11, 0 op_sel_hi:[1,0,0]
	v_cvt_f32_f16_e32 v27, v27
                                        ; implicit-def: $vgpr30
	v_cmp_nlt_f32_e64 s[6:7], |v27|, s12
	s_and_saveexec_b64 s[18:19], s[6:7]
	s_xor_b64 s[6:7], exec, s[18:19]
	s_cbranch_execz .LBB63_33
; %bb.32:                               ;   in Loop: Header=BB63_3 Depth=1
	v_add_f32_e64 v30, |v27|, |v27|
	v_mul_f32_e32 v31, 0x3fb8aa3b, v30
	v_rndne_f32_e32 v32, v31
	v_sub_f32_e32 v33, v31, v32
	v_fma_f32 v31, v30, s13, -v31
	v_fmac_f32_e32 v31, 0x32a5705f, v30
	v_add_f32_e32 v31, v33, v31
	v_cvt_i32_f32_e32 v32, v32
	v_exp_f32_e32 v31, v31
	v_cmp_ngt_f32_e32 vcc, s14, v30
	v_ldexp_f32 v31, v31, v32
	v_cndmask_b32_e32 v31, 0, v31, vcc
	v_cmp_nlt_f32_e32 vcc, s15, v30
	v_cndmask_b32_e32 v30, v13, v31, vcc
	v_add_f32_e32 v30, 1.0, v30
	v_rcp_f32_e32 v30, v30
	v_fma_f32 v30, v30, -2.0, 1.0
.LBB63_33:                              ;   in Loop: Header=BB63_3 Depth=1
	s_andn2_saveexec_b64 s[6:7], s[6:7]
	s_cbranch_execz .LBB63_2
; %bb.34:                               ;   in Loop: Header=BB63_3 Depth=1
	v_mul_f32_e32 v30, v27, v27
	v_mov_b32_e32 v31, 0x3ca908c9
	v_fmac_f32_e32 v31, 0xbbbac73d, v30
	v_fma_f32 v31, v30, v31, v10
	v_fma_f32 v31, v30, v31, v11
	;; [unrolled: 1-line block ×3, first 2 shown]
	v_mul_f32_e64 v31, |v27|, v31
	v_fma_f32 v30, v30, v31, |v27|
	s_branch .LBB63_2
.LBB63_35:
	s_endpgm
	.section	.rodata,"a",@progbits
	.p2align	6, 0x0
	.amdhsa_kernel _ZN4vllm17activation_kernelIN3c104HalfETnPFT_RKS3_EXadL_ZNS_15gelu_new_kernelIS2_EES3_S5_EELb1ELb0EEEvPS3_PS4_i
		.amdhsa_group_segment_fixed_size 0
		.amdhsa_private_segment_fixed_size 0
		.amdhsa_kernarg_size 280
		.amdhsa_user_sgpr_count 6
		.amdhsa_user_sgpr_private_segment_buffer 1
		.amdhsa_user_sgpr_dispatch_ptr 0
		.amdhsa_user_sgpr_queue_ptr 0
		.amdhsa_user_sgpr_kernarg_segment_ptr 1
		.amdhsa_user_sgpr_dispatch_id 0
		.amdhsa_user_sgpr_flat_scratch_init 0
		.amdhsa_user_sgpr_kernarg_preload_length 0
		.amdhsa_user_sgpr_kernarg_preload_offset 0
		.amdhsa_user_sgpr_private_segment_size 0
		.amdhsa_uses_dynamic_stack 0
		.amdhsa_system_sgpr_private_segment_wavefront_offset 0
		.amdhsa_system_sgpr_workgroup_id_x 1
		.amdhsa_system_sgpr_workgroup_id_y 0
		.amdhsa_system_sgpr_workgroup_id_z 0
		.amdhsa_system_sgpr_workgroup_info 0
		.amdhsa_system_vgpr_workitem_id 0
		.amdhsa_next_free_vgpr 34
		.amdhsa_next_free_sgpr 20
		.amdhsa_accum_offset 36
		.amdhsa_reserve_vcc 1
		.amdhsa_reserve_flat_scratch 0
		.amdhsa_float_round_mode_32 0
		.amdhsa_float_round_mode_16_64 0
		.amdhsa_float_denorm_mode_32 3
		.amdhsa_float_denorm_mode_16_64 3
		.amdhsa_dx10_clamp 1
		.amdhsa_ieee_mode 1
		.amdhsa_fp16_overflow 0
		.amdhsa_tg_split 0
		.amdhsa_exception_fp_ieee_invalid_op 0
		.amdhsa_exception_fp_denorm_src 0
		.amdhsa_exception_fp_ieee_div_zero 0
		.amdhsa_exception_fp_ieee_overflow 0
		.amdhsa_exception_fp_ieee_underflow 0
		.amdhsa_exception_fp_ieee_inexact 0
		.amdhsa_exception_int_div_zero 0
	.end_amdhsa_kernel
	.section	.text._ZN4vllm17activation_kernelIN3c104HalfETnPFT_RKS3_EXadL_ZNS_15gelu_new_kernelIS2_EES3_S5_EELb1ELb0EEEvPS3_PS4_i,"axG",@progbits,_ZN4vllm17activation_kernelIN3c104HalfETnPFT_RKS3_EXadL_ZNS_15gelu_new_kernelIS2_EES3_S5_EELb1ELb0EEEvPS3_PS4_i,comdat
.Lfunc_end63:
	.size	_ZN4vllm17activation_kernelIN3c104HalfETnPFT_RKS3_EXadL_ZNS_15gelu_new_kernelIS2_EES3_S5_EELb1ELb0EEEvPS3_PS4_i, .Lfunc_end63-_ZN4vllm17activation_kernelIN3c104HalfETnPFT_RKS3_EXadL_ZNS_15gelu_new_kernelIS2_EES3_S5_EELb1ELb0EEEvPS3_PS4_i
                                        ; -- End function
	.section	.AMDGPU.csdata,"",@progbits
; Kernel info:
; codeLenInByte = 2324
; NumSgprs: 24
; NumVgprs: 34
; NumAgprs: 0
; TotalNumVgprs: 34
; ScratchSize: 0
; MemoryBound: 0
; FloatMode: 240
; IeeeMode: 1
; LDSByteSize: 0 bytes/workgroup (compile time only)
; SGPRBlocks: 2
; VGPRBlocks: 4
; NumSGPRsForWavesPerEU: 24
; NumVGPRsForWavesPerEU: 34
; AccumOffset: 36
; Occupancy: 8
; WaveLimiterHint : 0
; COMPUTE_PGM_RSRC2:SCRATCH_EN: 0
; COMPUTE_PGM_RSRC2:USER_SGPR: 6
; COMPUTE_PGM_RSRC2:TRAP_HANDLER: 0
; COMPUTE_PGM_RSRC2:TGID_X_EN: 1
; COMPUTE_PGM_RSRC2:TGID_Y_EN: 0
; COMPUTE_PGM_RSRC2:TGID_Z_EN: 0
; COMPUTE_PGM_RSRC2:TIDIG_COMP_CNT: 0
; COMPUTE_PGM_RSRC3_GFX90A:ACCUM_OFFSET: 8
; COMPUTE_PGM_RSRC3_GFX90A:TG_SPLIT: 0
	.section	.text._ZN4vllm17activation_kernelIN3c108BFloat16ETnPFT_RKS3_EXadL_ZNS_15gelu_new_kernelIS2_EES3_S5_EELb1ELb0EEEvPS3_PS4_i,"axG",@progbits,_ZN4vllm17activation_kernelIN3c108BFloat16ETnPFT_RKS3_EXadL_ZNS_15gelu_new_kernelIS2_EES3_S5_EELb1ELb0EEEvPS3_PS4_i,comdat
	.protected	_ZN4vllm17activation_kernelIN3c108BFloat16ETnPFT_RKS3_EXadL_ZNS_15gelu_new_kernelIS2_EES3_S5_EELb1ELb0EEEvPS3_PS4_i ; -- Begin function _ZN4vllm17activation_kernelIN3c108BFloat16ETnPFT_RKS3_EXadL_ZNS_15gelu_new_kernelIS2_EES3_S5_EELb1ELb0EEEvPS3_PS4_i
	.globl	_ZN4vllm17activation_kernelIN3c108BFloat16ETnPFT_RKS3_EXadL_ZNS_15gelu_new_kernelIS2_EES3_S5_EELb1ELb0EEEvPS3_PS4_i
	.p2align	8
	.type	_ZN4vllm17activation_kernelIN3c108BFloat16ETnPFT_RKS3_EXadL_ZNS_15gelu_new_kernelIS2_EES3_S5_EELb1ELb0EEEvPS3_PS4_i,@function
_ZN4vllm17activation_kernelIN3c108BFloat16ETnPFT_RKS3_EXadL_ZNS_15gelu_new_kernelIS2_EES3_S5_EELb1ELb0EEEvPS3_PS4_i: ; @_ZN4vllm17activation_kernelIN3c108BFloat16ETnPFT_RKS3_EXadL_ZNS_15gelu_new_kernelIS2_EES3_S5_EELb1ELb0EEEvPS3_PS4_i
; %bb.0:
	s_load_dword s0, s[4:5], 0x10
	s_waitcnt lgkmcnt(0)
	s_ashr_i32 s1, s0, 31
	s_lshr_b32 s1, s1, 29
	s_add_i32 s1, s0, s1
	s_ashr_i32 s10, s1, 3
	v_cmp_gt_i32_e32 vcc, s10, v0
	s_and_saveexec_b64 s[2:3], vcc
	s_cbranch_execz .LBB64_35
; %bb.1:
	s_load_dword s1, s[4:5], 0x24
	s_load_dwordx4 s[12:15], s[4:5], 0x0
	v_lshlrev_b32_e32 v2, 4, v0
	s_mul_i32 s2, s6, s0
	s_mov_b32 s3, 0
	s_lshl_b64 s[4:5], s[2:3], 1
	s_waitcnt lgkmcnt(0)
	v_mov_b32_e32 v1, s13
	v_add_co_u32_e32 v6, vcc, s12, v2
	v_addc_co_u32_e32 v1, vcc, 0, v1, vcc
	s_and_b32 s2, s1, 0xffff
	v_mov_b32_e32 v3, s15
	v_add_co_u32_e32 v8, vcc, s14, v2
	s_lshl_b32 s11, s2, 4
	v_addc_co_u32_e32 v7, vcc, 0, v3, vcc
	s_mov_b64 s[6:7], 0
	v_mov_b32_e32 v9, s5
	s_movk_i32 s12, 0x7fff
	v_mov_b32_e32 v10, 0x7fc00000
	s_mov_b32 s13, 0x3f200000
	s_mov_b32 s14, 0x3fb8aa3b
	;; [unrolled: 1-line block ×4, first 2 shown]
	v_mov_b32_e32 v11, 0xbd5c1c4e
	v_mov_b32_e32 v12, 0x3e088382
	;; [unrolled: 1-line block ×3, first 2 shown]
	s_brev_b32 s17, -2
	s_mov_b32 s18, 0x5040100
	v_mov_b32_e32 v14, 0x7f800000
	v_mov_b32_e32 v15, 0x7fc0
	s_branch .LBB64_3
.LBB64_2:                               ;   in Loop: Header=BB64_3 Depth=1
	s_or_b64 exec, exec, s[0:1]
	v_bfi_b32 v34, s17, v34, v35
	v_bfe_u32 v35, v34, 16, 1
	v_add3_u32 v35, v34, v35, s12
	v_and_b32_e32 v35, 0xffff0000, v35
	v_add_f32_e32 v35, 1.0, v35
	v_cmp_o_f32_e32 vcc, v34, v34
	v_cndmask_b32_e32 v34, v10, v35, vcc
	v_mul_f32_e32 v33, 0.5, v33
	v_bfe_u32 v35, v34, 16, 1
	v_bfe_u32 v36, v33, 16, 1
	v_add3_u32 v35, v34, v35, s12
	v_add3_u32 v36, v33, v36, s12
	v_and_b32_e32 v35, 0xffff0000, v35
	v_cmp_o_f32_e32 vcc, v34, v34
	v_and_b32_e32 v36, 0xffff0000, v36
	v_cndmask_b32_e32 v34, v10, v35, vcc
	v_cmp_o_f32_e32 vcc, v33, v33
	v_cndmask_b32_e32 v33, v10, v36, vcc
	v_mul_f32_e32 v33, v33, v34
	v_bfi_b32 v29, s17, v29, v30
	v_bfe_u32 v34, v33, 16, 1
	v_bfe_u32 v30, v29, 16, 1
	v_add3_u32 v34, v33, v34, s12
	v_add3_u32 v30, v29, v30, s12
	v_lshrrev_b32_e32 v34, 16, v34
	v_cmp_o_f32_e32 vcc, v33, v33
	v_and_b32_e32 v30, 0xffff0000, v30
	v_cndmask_b32_e32 v33, v15, v34, vcc
	v_add_f32_e32 v30, 1.0, v30
	v_cmp_o_f32_e32 vcc, v29, v29
	v_cndmask_b32_e32 v29, v10, v30, vcc
	v_mul_f32_e32 v4, 0.5, v4
	v_bfe_u32 v30, v29, 16, 1
	v_bfe_u32 v34, v4, 16, 1
	v_add3_u32 v30, v29, v30, s12
	v_add3_u32 v34, v4, v34, s12
	v_and_b32_e32 v30, 0xffff0000, v30
	v_cmp_o_f32_e32 vcc, v29, v29
	v_and_b32_e32 v34, 0xffff0000, v34
	v_cndmask_b32_e32 v29, v10, v30, vcc
	v_cmp_o_f32_e32 vcc, v4, v4
	v_cndmask_b32_e32 v4, v10, v34, vcc
	v_mul_f32_e32 v4, v4, v29
	v_bfi_b32 v27, s17, v27, v28
	v_bfe_u32 v29, v4, 16, 1
	v_bfe_u32 v28, v27, 16, 1
	v_add3_u32 v29, v4, v29, s12
	v_add3_u32 v28, v27, v28, s12
	v_lshrrev_b32_e32 v29, 16, v29
	v_cmp_o_f32_e32 vcc, v4, v4
	v_and_b32_e32 v28, 0xffff0000, v28
	v_cndmask_b32_e32 v4, v15, v29, vcc
	;; [unrolled: 24-line block ×6, first 2 shown]
	v_add_f32_e32 v18, 1.0, v18
	v_cmp_o_f32_e32 vcc, v17, v17
	v_cndmask_b32_e32 v17, v10, v18, vcc
	v_mul_f32_e32 v16, 0.5, v16
	v_bfe_u32 v18, v17, 16, 1
	v_bfe_u32 v19, v16, 16, 1
	v_add3_u32 v18, v17, v18, s12
	v_add3_u32 v19, v16, v19, s12
	v_and_b32_e32 v18, 0xffff0000, v18
	v_cmp_o_f32_e32 vcc, v17, v17
	v_and_b32_e32 v19, 0xffff0000, v19
	v_cndmask_b32_e32 v17, v10, v18, vcc
	v_cmp_o_f32_e32 vcc, v16, v16
	v_cndmask_b32_e32 v16, v10, v19, vcc
	v_mul_f32_e32 v16, v16, v17
	v_bfe_u32 v17, v16, 16, 1
	v_add3_u32 v17, v16, v17, s12
	v_lshrrev_b32_e32 v17, 16, v17
	v_cmp_o_f32_e32 vcc, v16, v16
	v_bfi_b32 v16, s17, v31, v32
	v_cndmask_b32_e32 v18, v15, v17, vcc
	v_bfe_u32 v17, v16, 16, 1
	v_add3_u32 v17, v16, v17, s12
	v_and_b32_e32 v17, 0xffff0000, v17
	v_add_f32_e32 v17, 1.0, v17
	v_cmp_o_f32_e32 vcc, v16, v16
	v_cndmask_b32_e32 v16, v10, v17, vcc
	v_mul_f32_e32 v5, 0.5, v5
	v_bfe_u32 v17, v16, 16, 1
	v_bfe_u32 v19, v5, 16, 1
	v_add3_u32 v17, v16, v17, s12
	v_add3_u32 v19, v5, v19, s12
	v_and_b32_e32 v17, 0xffff0000, v17
	v_cmp_o_f32_e32 vcc, v16, v16
	v_and_b32_e32 v19, 0xffff0000, v19
	v_cndmask_b32_e32 v16, v10, v17, vcc
	v_cmp_o_f32_e32 vcc, v5, v5
	v_cndmask_b32_e32 v5, v10, v19, vcc
	v_mul_f32_e32 v5, v5, v16
	v_bfe_u32 v16, v5, 16, 1
	v_add3_u32 v16, v5, v16, s12
	v_lshrrev_b32_e32 v16, 16, v16
	v_cmp_o_f32_e32 vcc, v5, v5
	v_cndmask_b32_e32 v5, v15, v16, vcc
	v_mov_b32_e32 v17, s5
	v_add_co_u32_e32 v16, vcc, s4, v6
	v_addc_co_u32_e32 v17, vcc, v1, v17, vcc
	v_perm_b32 v5, v5, v33, s18
	v_perm_b32 v4, v4, v26, s18
	;; [unrolled: 1-line block ×4, first 2 shown]
	global_store_dwordx4 v[16:17], v[2:5], off
	v_add_co_u32_e32 v6, vcc, s11, v6
	v_mov_b32_e32 v2, s3
	v_add_u32_e32 v0, s2, v0
	v_addc_co_u32_e32 v1, vcc, v1, v2, vcc
	v_cmp_le_i32_e32 vcc, s10, v0
	s_or_b64 s[6:7], vcc, s[6:7]
	v_add_co_u32_e32 v8, vcc, s11, v8
	v_addc_co_u32_e32 v7, vcc, v7, v2, vcc
	s_andn2_b64 exec, exec, s[6:7]
	s_cbranch_execz .LBB64_35
.LBB64_3:                               ; =>This Inner Loop Header: Depth=1
	v_add_co_u32_e32 v2, vcc, s4, v8
	v_addc_co_u32_e32 v3, vcc, v7, v9, vcc
	global_load_dwordx4 v[2:5], v[2:3], off
	s_waitcnt vmcnt(0)
	v_lshlrev_b32_e32 v16, 16, v2
	v_mul_f32_e32 v17, v16, v16
	v_bfe_u32 v18, v17, 16, 1
	v_add3_u32 v18, v17, v18, s12
	v_and_b32_e32 v18, 0xffff0000, v18
	v_cmp_o_f32_e32 vcc, v17, v17
	v_cndmask_b32_e32 v17, v10, v18, vcc
	v_mul_f32_e32 v17, v17, v16
	v_bfe_u32 v18, v17, 16, 1
	v_add3_u32 v18, v17, v18, s12
	v_and_b32_e32 v18, 0xffff0000, v18
	v_mul_f32_e32 v18, 0x3d372713, v18
	v_cmp_o_f32_e32 vcc, v17, v17
	v_cndmask_b32_e32 v17, v10, v18, vcc
	v_bfe_u32 v18, v17, 16, 1
	v_add3_u32 v18, v17, v18, s12
	v_and_b32_e32 v18, 0xffff0000, v18
	v_cmp_o_f32_e32 vcc, v17, v17
	v_cndmask_b32_e32 v17, v10, v18, vcc
	v_add_f32_e32 v17, v17, v16
	v_bfe_u32 v18, v17, 16, 1
	v_add3_u32 v18, v17, v18, s12
	v_and_b32_e32 v18, 0xffff0000, v18
	v_mul_f32_e32 v18, 0x3f4c422a, v18
	v_cmp_o_f32_e32 vcc, v17, v17
	v_cndmask_b32_e32 v17, v10, v18, vcc
	v_bfe_u32 v18, v17, 16, 1
	v_add3_u32 v18, v17, v18, s12
	v_and_b32_e32 v18, 0xffff0000, v18
	v_cmp_u_f32_e32 vcc, v17, v17
	v_cndmask_b32_e64 v17, |v18|, v10, vcc
	v_cmp_ngt_f32_e64 s[0:1], s13, v17
	s_and_saveexec_b64 s[8:9], s[0:1]
	s_xor_b64 s[8:9], exec, s[8:9]
	s_cbranch_execz .LBB64_5
; %bb.4:                                ;   in Loop: Header=BB64_3 Depth=1
	v_add_f32_e32 v17, v17, v17
	v_mul_f32_e32 v19, 0x3fb8aa3b, v17
	v_rndne_f32_e32 v20, v19
	v_sub_f32_e32 v21, v19, v20
	v_fma_f32 v19, v17, s14, -v19
	v_fmac_f32_e32 v19, 0x32a5705f, v17
	v_add_f32_e32 v19, v21, v19
	v_cvt_i32_f32_e32 v20, v20
	v_exp_f32_e32 v19, v19
	v_cmp_ngt_f32_e64 s[0:1], s15, v17
	v_ldexp_f32 v19, v19, v20
	v_cndmask_b32_e64 v19, 0, v19, s[0:1]
	v_cmp_nlt_f32_e64 s[0:1], s16, v17
	v_cndmask_b32_e64 v17, v14, v19, s[0:1]
	v_add_f32_e32 v17, 1.0, v17
	v_rcp_f32_e32 v17, v17
	v_fma_f32 v17, v17, -2.0, 1.0
.LBB64_5:                               ;   in Loop: Header=BB64_3 Depth=1
	s_or_saveexec_b64 s[0:1], s[8:9]
	v_cndmask_b32_e32 v18, v18, v10, vcc
	s_xor_b64 exec, exec, s[0:1]
; %bb.6:                                ;   in Loop: Header=BB64_3 Depth=1
	v_mul_f32_e32 v19, v18, v18
	v_mov_b32_e32 v20, 0x3ca908c9
	v_fmac_f32_e32 v20, 0xbbbac73d, v19
	v_fma_f32 v20, v19, v20, v11
	v_fma_f32 v20, v19, v20, v12
	;; [unrolled: 1-line block ×3, first 2 shown]
	v_mul_f32_e32 v20, v17, v20
	v_fmac_f32_e32 v17, v19, v20
; %bb.7:                                ;   in Loop: Header=BB64_3 Depth=1
	s_or_b64 exec, exec, s[0:1]
	v_and_b32_e32 v2, 0xffff0000, v2
	v_mul_f32_e32 v19, v2, v2
	v_bfe_u32 v20, v19, 16, 1
	v_add3_u32 v20, v19, v20, s12
	v_and_b32_e32 v20, 0xffff0000, v20
	v_cmp_o_f32_e32 vcc, v19, v19
	v_cndmask_b32_e32 v19, v10, v20, vcc
	v_mul_f32_e32 v19, v19, v2
	v_bfe_u32 v20, v19, 16, 1
	v_add3_u32 v20, v19, v20, s12
	v_and_b32_e32 v20, 0xffff0000, v20
	v_mul_f32_e32 v20, 0x3d372713, v20
	v_cmp_o_f32_e32 vcc, v19, v19
	v_cndmask_b32_e32 v19, v10, v20, vcc
	v_bfe_u32 v20, v19, 16, 1
	v_add3_u32 v20, v19, v20, s12
	v_and_b32_e32 v20, 0xffff0000, v20
	v_cmp_o_f32_e32 vcc, v19, v19
	v_cndmask_b32_e32 v19, v10, v20, vcc
	v_add_f32_e32 v19, v19, v2
	v_bfe_u32 v20, v19, 16, 1
	v_add3_u32 v20, v19, v20, s12
	v_and_b32_e32 v20, 0xffff0000, v20
	v_mul_f32_e32 v20, 0x3f4c422a, v20
	v_cmp_o_f32_e32 vcc, v19, v19
	v_cndmask_b32_e32 v19, v10, v20, vcc
	v_bfe_u32 v20, v19, 16, 1
	v_add3_u32 v20, v19, v20, s12
	v_and_b32_e32 v20, 0xffff0000, v20
	v_cmp_u_f32_e32 vcc, v19, v19
	v_cndmask_b32_e64 v19, |v20|, v10, vcc
	v_cmp_ngt_f32_e64 s[0:1], s13, v19
	s_and_saveexec_b64 s[8:9], s[0:1]
	s_xor_b64 s[8:9], exec, s[8:9]
	s_cbranch_execz .LBB64_9
; %bb.8:                                ;   in Loop: Header=BB64_3 Depth=1
	v_add_f32_e32 v19, v19, v19
	v_mul_f32_e32 v21, 0x3fb8aa3b, v19
	v_rndne_f32_e32 v22, v21
	v_sub_f32_e32 v23, v21, v22
	v_fma_f32 v21, v19, s14, -v21
	v_fmac_f32_e32 v21, 0x32a5705f, v19
	v_add_f32_e32 v21, v23, v21
	v_cvt_i32_f32_e32 v22, v22
	v_exp_f32_e32 v21, v21
	v_cmp_ngt_f32_e64 s[0:1], s15, v19
	v_ldexp_f32 v21, v21, v22
	v_cndmask_b32_e64 v21, 0, v21, s[0:1]
	v_cmp_nlt_f32_e64 s[0:1], s16, v19
	v_cndmask_b32_e64 v19, v14, v21, s[0:1]
	v_add_f32_e32 v19, 1.0, v19
	v_rcp_f32_e32 v19, v19
	v_fma_f32 v19, v19, -2.0, 1.0
.LBB64_9:                               ;   in Loop: Header=BB64_3 Depth=1
	s_or_saveexec_b64 s[0:1], s[8:9]
	v_cndmask_b32_e32 v20, v20, v10, vcc
	s_xor_b64 exec, exec, s[0:1]
; %bb.10:                               ;   in Loop: Header=BB64_3 Depth=1
	v_mul_f32_e32 v21, v20, v20
	v_mov_b32_e32 v22, 0x3ca908c9
	v_fmac_f32_e32 v22, 0xbbbac73d, v21
	v_fma_f32 v22, v21, v22, v11
	v_fma_f32 v22, v21, v22, v12
	;; [unrolled: 1-line block ×3, first 2 shown]
	v_mul_f32_e32 v22, v19, v22
	v_fmac_f32_e32 v19, v21, v22
; %bb.11:                               ;   in Loop: Header=BB64_3 Depth=1
	s_or_b64 exec, exec, s[0:1]
	v_lshlrev_b32_e32 v21, 16, v3
	v_mul_f32_e32 v22, v21, v21
	v_bfe_u32 v23, v22, 16, 1
	v_add3_u32 v23, v22, v23, s12
	v_and_b32_e32 v23, 0xffff0000, v23
	v_cmp_o_f32_e32 vcc, v22, v22
	v_cndmask_b32_e32 v22, v10, v23, vcc
	v_mul_f32_e32 v22, v22, v21
	v_bfe_u32 v23, v22, 16, 1
	v_add3_u32 v23, v22, v23, s12
	v_and_b32_e32 v23, 0xffff0000, v23
	v_mul_f32_e32 v23, 0x3d372713, v23
	v_cmp_o_f32_e32 vcc, v22, v22
	v_cndmask_b32_e32 v22, v10, v23, vcc
	v_bfe_u32 v23, v22, 16, 1
	v_add3_u32 v23, v22, v23, s12
	v_and_b32_e32 v23, 0xffff0000, v23
	v_cmp_o_f32_e32 vcc, v22, v22
	v_cndmask_b32_e32 v22, v10, v23, vcc
	v_add_f32_e32 v22, v22, v21
	v_bfe_u32 v23, v22, 16, 1
	v_add3_u32 v23, v22, v23, s12
	v_and_b32_e32 v23, 0xffff0000, v23
	v_mul_f32_e32 v23, 0x3f4c422a, v23
	v_cmp_o_f32_e32 vcc, v22, v22
	v_cndmask_b32_e32 v22, v10, v23, vcc
	v_bfe_u32 v23, v22, 16, 1
	v_add3_u32 v23, v22, v23, s12
	v_and_b32_e32 v23, 0xffff0000, v23
	v_cmp_u_f32_e32 vcc, v22, v22
	v_cndmask_b32_e64 v22, |v23|, v10, vcc
	v_cmp_ngt_f32_e64 s[0:1], s13, v22
	s_and_saveexec_b64 s[8:9], s[0:1]
	s_xor_b64 s[8:9], exec, s[8:9]
	s_cbranch_execz .LBB64_13
; %bb.12:                               ;   in Loop: Header=BB64_3 Depth=1
	v_add_f32_e32 v22, v22, v22
	v_mul_f32_e32 v24, 0x3fb8aa3b, v22
	v_rndne_f32_e32 v25, v24
	v_sub_f32_e32 v26, v24, v25
	v_fma_f32 v24, v22, s14, -v24
	v_fmac_f32_e32 v24, 0x32a5705f, v22
	v_add_f32_e32 v24, v26, v24
	v_cvt_i32_f32_e32 v25, v25
	v_exp_f32_e32 v24, v24
	v_cmp_ngt_f32_e64 s[0:1], s15, v22
	v_ldexp_f32 v24, v24, v25
	v_cndmask_b32_e64 v24, 0, v24, s[0:1]
	v_cmp_nlt_f32_e64 s[0:1], s16, v22
	v_cndmask_b32_e64 v22, v14, v24, s[0:1]
	v_add_f32_e32 v22, 1.0, v22
	v_rcp_f32_e32 v22, v22
	v_fma_f32 v22, v22, -2.0, 1.0
.LBB64_13:                              ;   in Loop: Header=BB64_3 Depth=1
	s_or_saveexec_b64 s[0:1], s[8:9]
	v_cndmask_b32_e32 v23, v23, v10, vcc
	s_xor_b64 exec, exec, s[0:1]
; %bb.14:                               ;   in Loop: Header=BB64_3 Depth=1
	v_mul_f32_e32 v24, v23, v23
	v_mov_b32_e32 v25, 0x3ca908c9
	v_fmac_f32_e32 v25, 0xbbbac73d, v24
	v_fma_f32 v25, v24, v25, v11
	v_fma_f32 v25, v24, v25, v12
	v_fma_f32 v25, v24, v25, v13
	v_mul_f32_e32 v25, v22, v25
	v_fmac_f32_e32 v22, v24, v25
; %bb.15:                               ;   in Loop: Header=BB64_3 Depth=1
	s_or_b64 exec, exec, s[0:1]
	v_and_b32_e32 v3, 0xffff0000, v3
	v_mul_f32_e32 v24, v3, v3
	v_bfe_u32 v25, v24, 16, 1
	v_add3_u32 v25, v24, v25, s12
	v_and_b32_e32 v25, 0xffff0000, v25
	v_cmp_o_f32_e32 vcc, v24, v24
	v_cndmask_b32_e32 v24, v10, v25, vcc
	v_mul_f32_e32 v24, v24, v3
	v_bfe_u32 v25, v24, 16, 1
	v_add3_u32 v25, v24, v25, s12
	v_and_b32_e32 v25, 0xffff0000, v25
	v_mul_f32_e32 v25, 0x3d372713, v25
	v_cmp_o_f32_e32 vcc, v24, v24
	v_cndmask_b32_e32 v24, v10, v25, vcc
	v_bfe_u32 v25, v24, 16, 1
	v_add3_u32 v25, v24, v25, s12
	v_and_b32_e32 v25, 0xffff0000, v25
	v_cmp_o_f32_e32 vcc, v24, v24
	v_cndmask_b32_e32 v24, v10, v25, vcc
	v_add_f32_e32 v24, v24, v3
	v_bfe_u32 v25, v24, 16, 1
	v_add3_u32 v25, v24, v25, s12
	v_and_b32_e32 v25, 0xffff0000, v25
	v_mul_f32_e32 v25, 0x3f4c422a, v25
	v_cmp_o_f32_e32 vcc, v24, v24
	v_cndmask_b32_e32 v24, v10, v25, vcc
	v_bfe_u32 v25, v24, 16, 1
	v_add3_u32 v25, v24, v25, s12
	v_and_b32_e32 v25, 0xffff0000, v25
	v_cmp_u_f32_e32 vcc, v24, v24
	v_cndmask_b32_e64 v24, |v25|, v10, vcc
	v_cmp_ngt_f32_e64 s[0:1], s13, v24
	s_and_saveexec_b64 s[8:9], s[0:1]
	s_xor_b64 s[8:9], exec, s[8:9]
	s_cbranch_execz .LBB64_17
; %bb.16:                               ;   in Loop: Header=BB64_3 Depth=1
	v_add_f32_e32 v24, v24, v24
	v_mul_f32_e32 v26, 0x3fb8aa3b, v24
	v_rndne_f32_e32 v27, v26
	v_sub_f32_e32 v28, v26, v27
	v_fma_f32 v26, v24, s14, -v26
	v_fmac_f32_e32 v26, 0x32a5705f, v24
	v_add_f32_e32 v26, v28, v26
	v_cvt_i32_f32_e32 v27, v27
	v_exp_f32_e32 v26, v26
	v_cmp_ngt_f32_e64 s[0:1], s15, v24
	v_ldexp_f32 v26, v26, v27
	v_cndmask_b32_e64 v26, 0, v26, s[0:1]
	v_cmp_nlt_f32_e64 s[0:1], s16, v24
	v_cndmask_b32_e64 v24, v14, v26, s[0:1]
	v_add_f32_e32 v24, 1.0, v24
	v_rcp_f32_e32 v24, v24
	v_fma_f32 v24, v24, -2.0, 1.0
.LBB64_17:                              ;   in Loop: Header=BB64_3 Depth=1
	s_or_saveexec_b64 s[0:1], s[8:9]
	v_cndmask_b32_e32 v25, v25, v10, vcc
	s_xor_b64 exec, exec, s[0:1]
; %bb.18:                               ;   in Loop: Header=BB64_3 Depth=1
	v_mul_f32_e32 v26, v25, v25
	v_mov_b32_e32 v27, 0x3ca908c9
	v_fmac_f32_e32 v27, 0xbbbac73d, v26
	v_fma_f32 v27, v26, v27, v11
	v_fma_f32 v27, v26, v27, v12
	;; [unrolled: 1-line block ×3, first 2 shown]
	v_mul_f32_e32 v27, v24, v27
	v_fmac_f32_e32 v24, v26, v27
; %bb.19:                               ;   in Loop: Header=BB64_3 Depth=1
	s_or_b64 exec, exec, s[0:1]
	v_lshlrev_b32_e32 v26, 16, v4
	v_mul_f32_e32 v27, v26, v26
	v_bfe_u32 v28, v27, 16, 1
	v_add3_u32 v28, v27, v28, s12
	v_and_b32_e32 v28, 0xffff0000, v28
	v_cmp_o_f32_e32 vcc, v27, v27
	v_cndmask_b32_e32 v27, v10, v28, vcc
	v_mul_f32_e32 v27, v27, v26
	v_bfe_u32 v28, v27, 16, 1
	v_add3_u32 v28, v27, v28, s12
	v_and_b32_e32 v28, 0xffff0000, v28
	v_mul_f32_e32 v28, 0x3d372713, v28
	v_cmp_o_f32_e32 vcc, v27, v27
	v_cndmask_b32_e32 v27, v10, v28, vcc
	v_bfe_u32 v28, v27, 16, 1
	v_add3_u32 v28, v27, v28, s12
	v_and_b32_e32 v28, 0xffff0000, v28
	v_cmp_o_f32_e32 vcc, v27, v27
	v_cndmask_b32_e32 v27, v10, v28, vcc
	v_add_f32_e32 v27, v27, v26
	v_bfe_u32 v28, v27, 16, 1
	v_add3_u32 v28, v27, v28, s12
	v_and_b32_e32 v28, 0xffff0000, v28
	v_mul_f32_e32 v28, 0x3f4c422a, v28
	v_cmp_o_f32_e32 vcc, v27, v27
	v_cndmask_b32_e32 v27, v10, v28, vcc
	v_bfe_u32 v28, v27, 16, 1
	v_add3_u32 v28, v27, v28, s12
	v_and_b32_e32 v28, 0xffff0000, v28
	v_cmp_u_f32_e32 vcc, v27, v27
	v_cndmask_b32_e64 v27, |v28|, v10, vcc
	v_cmp_ngt_f32_e64 s[0:1], s13, v27
	s_and_saveexec_b64 s[8:9], s[0:1]
	s_xor_b64 s[8:9], exec, s[8:9]
	s_cbranch_execz .LBB64_21
; %bb.20:                               ;   in Loop: Header=BB64_3 Depth=1
	v_add_f32_e32 v27, v27, v27
	v_mul_f32_e32 v29, 0x3fb8aa3b, v27
	v_rndne_f32_e32 v30, v29
	v_sub_f32_e32 v31, v29, v30
	v_fma_f32 v29, v27, s14, -v29
	v_fmac_f32_e32 v29, 0x32a5705f, v27
	v_add_f32_e32 v29, v31, v29
	v_cvt_i32_f32_e32 v30, v30
	v_exp_f32_e32 v29, v29
	v_cmp_ngt_f32_e64 s[0:1], s15, v27
	v_ldexp_f32 v29, v29, v30
	v_cndmask_b32_e64 v29, 0, v29, s[0:1]
	v_cmp_nlt_f32_e64 s[0:1], s16, v27
	v_cndmask_b32_e64 v27, v14, v29, s[0:1]
	v_add_f32_e32 v27, 1.0, v27
	v_rcp_f32_e32 v27, v27
	v_fma_f32 v27, v27, -2.0, 1.0
.LBB64_21:                              ;   in Loop: Header=BB64_3 Depth=1
	s_or_saveexec_b64 s[0:1], s[8:9]
	v_cndmask_b32_e32 v28, v28, v10, vcc
	s_xor_b64 exec, exec, s[0:1]
; %bb.22:                               ;   in Loop: Header=BB64_3 Depth=1
	v_mul_f32_e32 v29, v28, v28
	v_mov_b32_e32 v30, 0x3ca908c9
	v_fmac_f32_e32 v30, 0xbbbac73d, v29
	v_fma_f32 v30, v29, v30, v11
	v_fma_f32 v30, v29, v30, v12
	;; [unrolled: 1-line block ×3, first 2 shown]
	v_mul_f32_e32 v30, v27, v30
	v_fmac_f32_e32 v27, v29, v30
; %bb.23:                               ;   in Loop: Header=BB64_3 Depth=1
	s_or_b64 exec, exec, s[0:1]
	v_and_b32_e32 v4, 0xffff0000, v4
	v_mul_f32_e32 v29, v4, v4
	v_bfe_u32 v30, v29, 16, 1
	v_add3_u32 v30, v29, v30, s12
	v_and_b32_e32 v30, 0xffff0000, v30
	v_cmp_o_f32_e32 vcc, v29, v29
	v_cndmask_b32_e32 v29, v10, v30, vcc
	v_mul_f32_e32 v29, v29, v4
	v_bfe_u32 v30, v29, 16, 1
	v_add3_u32 v30, v29, v30, s12
	v_and_b32_e32 v30, 0xffff0000, v30
	v_mul_f32_e32 v30, 0x3d372713, v30
	v_cmp_o_f32_e32 vcc, v29, v29
	v_cndmask_b32_e32 v29, v10, v30, vcc
	v_bfe_u32 v30, v29, 16, 1
	v_add3_u32 v30, v29, v30, s12
	v_and_b32_e32 v30, 0xffff0000, v30
	v_cmp_o_f32_e32 vcc, v29, v29
	v_cndmask_b32_e32 v29, v10, v30, vcc
	v_add_f32_e32 v29, v29, v4
	v_bfe_u32 v30, v29, 16, 1
	v_add3_u32 v30, v29, v30, s12
	v_and_b32_e32 v30, 0xffff0000, v30
	v_mul_f32_e32 v30, 0x3f4c422a, v30
	v_cmp_o_f32_e32 vcc, v29, v29
	v_cndmask_b32_e32 v29, v10, v30, vcc
	v_bfe_u32 v30, v29, 16, 1
	v_add3_u32 v30, v29, v30, s12
	v_and_b32_e32 v30, 0xffff0000, v30
	v_cmp_u_f32_e32 vcc, v29, v29
	v_cndmask_b32_e64 v29, |v30|, v10, vcc
	v_cmp_ngt_f32_e64 s[0:1], s13, v29
	s_and_saveexec_b64 s[8:9], s[0:1]
	s_xor_b64 s[8:9], exec, s[8:9]
	s_cbranch_execz .LBB64_25
; %bb.24:                               ;   in Loop: Header=BB64_3 Depth=1
	v_add_f32_e32 v29, v29, v29
	v_mul_f32_e32 v31, 0x3fb8aa3b, v29
	v_rndne_f32_e32 v32, v31
	v_sub_f32_e32 v33, v31, v32
	v_fma_f32 v31, v29, s14, -v31
	v_fmac_f32_e32 v31, 0x32a5705f, v29
	v_add_f32_e32 v31, v33, v31
	v_cvt_i32_f32_e32 v32, v32
	v_exp_f32_e32 v31, v31
	v_cmp_ngt_f32_e64 s[0:1], s15, v29
	v_ldexp_f32 v31, v31, v32
	v_cndmask_b32_e64 v31, 0, v31, s[0:1]
	v_cmp_nlt_f32_e64 s[0:1], s16, v29
	v_cndmask_b32_e64 v29, v14, v31, s[0:1]
	v_add_f32_e32 v29, 1.0, v29
	v_rcp_f32_e32 v29, v29
	v_fma_f32 v29, v29, -2.0, 1.0
.LBB64_25:                              ;   in Loop: Header=BB64_3 Depth=1
	s_or_saveexec_b64 s[0:1], s[8:9]
	v_cndmask_b32_e32 v30, v30, v10, vcc
	s_xor_b64 exec, exec, s[0:1]
; %bb.26:                               ;   in Loop: Header=BB64_3 Depth=1
	v_mul_f32_e32 v31, v30, v30
	v_mov_b32_e32 v32, 0x3ca908c9
	v_fmac_f32_e32 v32, 0xbbbac73d, v31
	v_fma_f32 v32, v31, v32, v11
	v_fma_f32 v32, v31, v32, v12
	v_fma_f32 v32, v31, v32, v13
	v_mul_f32_e32 v32, v29, v32
	v_fmac_f32_e32 v29, v31, v32
; %bb.27:                               ;   in Loop: Header=BB64_3 Depth=1
	s_or_b64 exec, exec, s[0:1]
	v_lshlrev_b32_e32 v33, 16, v5
	v_mul_f32_e32 v31, v33, v33
	v_bfe_u32 v32, v31, 16, 1
	v_add3_u32 v32, v31, v32, s12
	v_and_b32_e32 v32, 0xffff0000, v32
	v_cmp_o_f32_e32 vcc, v31, v31
	v_cndmask_b32_e32 v31, v10, v32, vcc
	v_mul_f32_e32 v31, v31, v33
	v_bfe_u32 v32, v31, 16, 1
	v_add3_u32 v32, v31, v32, s12
	v_and_b32_e32 v32, 0xffff0000, v32
	v_mul_f32_e32 v32, 0x3d372713, v32
	v_cmp_o_f32_e32 vcc, v31, v31
	v_cndmask_b32_e32 v31, v10, v32, vcc
	v_bfe_u32 v32, v31, 16, 1
	v_add3_u32 v32, v31, v32, s12
	v_and_b32_e32 v32, 0xffff0000, v32
	v_cmp_o_f32_e32 vcc, v31, v31
	v_cndmask_b32_e32 v31, v10, v32, vcc
	v_add_f32_e32 v31, v31, v33
	v_bfe_u32 v32, v31, 16, 1
	v_add3_u32 v32, v31, v32, s12
	v_and_b32_e32 v32, 0xffff0000, v32
	v_mul_f32_e32 v32, 0x3f4c422a, v32
	v_cmp_o_f32_e32 vcc, v31, v31
	v_cndmask_b32_e32 v32, v10, v32, vcc
	v_bfe_u32 v31, v32, 16, 1
	v_add3_u32 v31, v32, v31, s12
	v_and_b32_e32 v31, 0xffff0000, v31
	v_cmp_u_f32_e32 vcc, v32, v32
	v_cndmask_b32_e64 v34, |v31|, v10, vcc
	v_cmp_ngt_f32_e64 s[0:1], s13, v34
	s_and_saveexec_b64 s[8:9], s[0:1]
	s_xor_b64 s[8:9], exec, s[8:9]
	s_cbranch_execz .LBB64_29
; %bb.28:                               ;   in Loop: Header=BB64_3 Depth=1
	v_add_f32_e32 v32, v34, v34
	v_mul_f32_e32 v34, 0x3fb8aa3b, v32
	v_rndne_f32_e32 v35, v34
	v_sub_f32_e32 v36, v34, v35
	v_fma_f32 v34, v32, s14, -v34
	v_fmac_f32_e32 v34, 0x32a5705f, v32
	v_add_f32_e32 v34, v36, v34
	v_cvt_i32_f32_e32 v35, v35
	v_exp_f32_e32 v34, v34
	v_cmp_ngt_f32_e64 s[0:1], s15, v32
	v_ldexp_f32 v34, v34, v35
	v_cndmask_b32_e64 v34, 0, v34, s[0:1]
	v_cmp_nlt_f32_e64 s[0:1], s16, v32
	v_cndmask_b32_e64 v32, v14, v34, s[0:1]
	v_add_f32_e32 v32, 1.0, v32
	v_rcp_f32_e32 v32, v32
	v_fma_f32 v34, v32, -2.0, 1.0
.LBB64_29:                              ;   in Loop: Header=BB64_3 Depth=1
	s_or_saveexec_b64 s[0:1], s[8:9]
	v_cndmask_b32_e32 v35, v31, v10, vcc
	s_xor_b64 exec, exec, s[0:1]
; %bb.30:                               ;   in Loop: Header=BB64_3 Depth=1
	v_mul_f32_e32 v31, v35, v35
	v_mov_b32_e32 v32, 0x3ca908c9
	v_fmac_f32_e32 v32, 0xbbbac73d, v31
	v_fma_f32 v32, v31, v32, v11
	v_fma_f32 v32, v31, v32, v12
	v_fma_f32 v32, v31, v32, v13
	v_mul_f32_e32 v32, v34, v32
	v_fmac_f32_e32 v34, v31, v32
; %bb.31:                               ;   in Loop: Header=BB64_3 Depth=1
	s_or_b64 exec, exec, s[0:1]
	v_and_b32_e32 v5, 0xffff0000, v5
	v_mul_f32_e32 v31, v5, v5
	v_bfe_u32 v32, v31, 16, 1
	v_add3_u32 v32, v31, v32, s12
	v_and_b32_e32 v32, 0xffff0000, v32
	v_cmp_o_f32_e32 vcc, v31, v31
	v_cndmask_b32_e32 v31, v10, v32, vcc
	v_mul_f32_e32 v31, v31, v5
	v_bfe_u32 v32, v31, 16, 1
	v_add3_u32 v32, v31, v32, s12
	v_and_b32_e32 v32, 0xffff0000, v32
	v_mul_f32_e32 v32, 0x3d372713, v32
	v_cmp_o_f32_e32 vcc, v31, v31
	v_cndmask_b32_e32 v31, v10, v32, vcc
	v_bfe_u32 v32, v31, 16, 1
	v_add3_u32 v32, v31, v32, s12
	v_and_b32_e32 v32, 0xffff0000, v32
	v_cmp_o_f32_e32 vcc, v31, v31
	v_cndmask_b32_e32 v31, v10, v32, vcc
	v_add_f32_e32 v31, v31, v5
	v_bfe_u32 v32, v31, 16, 1
	v_add3_u32 v32, v31, v32, s12
	v_and_b32_e32 v32, 0xffff0000, v32
	v_mul_f32_e32 v32, 0x3f4c422a, v32
	v_cmp_o_f32_e32 vcc, v31, v31
	v_cndmask_b32_e32 v31, v10, v32, vcc
	v_bfe_u32 v32, v31, 16, 1
	v_add3_u32 v32, v31, v32, s12
	v_and_b32_e32 v32, 0xffff0000, v32
	v_cmp_u_f32_e32 vcc, v31, v31
	v_cndmask_b32_e64 v31, |v32|, v10, vcc
	v_cmp_ngt_f32_e64 s[0:1], s13, v31
	s_and_saveexec_b64 s[8:9], s[0:1]
	s_xor_b64 s[8:9], exec, s[8:9]
	s_cbranch_execz .LBB64_33
; %bb.32:                               ;   in Loop: Header=BB64_3 Depth=1
	v_add_f32_e32 v31, v31, v31
	v_mul_f32_e32 v36, 0x3fb8aa3b, v31
	v_rndne_f32_e32 v37, v36
	v_sub_f32_e32 v38, v36, v37
	v_fma_f32 v36, v31, s14, -v36
	v_fmac_f32_e32 v36, 0x32a5705f, v31
	v_add_f32_e32 v36, v38, v36
	v_cvt_i32_f32_e32 v37, v37
	v_exp_f32_e32 v36, v36
	v_cmp_ngt_f32_e64 s[0:1], s15, v31
	v_ldexp_f32 v36, v36, v37
	v_cndmask_b32_e64 v36, 0, v36, s[0:1]
	v_cmp_nlt_f32_e64 s[0:1], s16, v31
	v_cndmask_b32_e64 v31, v14, v36, s[0:1]
	v_add_f32_e32 v31, 1.0, v31
	v_rcp_f32_e32 v31, v31
	v_fma_f32 v31, v31, -2.0, 1.0
.LBB64_33:                              ;   in Loop: Header=BB64_3 Depth=1
	s_or_saveexec_b64 s[0:1], s[8:9]
	v_cndmask_b32_e32 v32, v32, v10, vcc
	s_xor_b64 exec, exec, s[0:1]
	s_cbranch_execz .LBB64_2
; %bb.34:                               ;   in Loop: Header=BB64_3 Depth=1
	v_mul_f32_e32 v36, v32, v32
	v_mov_b32_e32 v37, 0x3ca908c9
	v_fmac_f32_e32 v37, 0xbbbac73d, v36
	v_fma_f32 v37, v36, v37, v11
	v_fma_f32 v37, v36, v37, v12
	;; [unrolled: 1-line block ×3, first 2 shown]
	v_mul_f32_e32 v37, v31, v37
	v_fmac_f32_e32 v31, v36, v37
	s_branch .LBB64_2
.LBB64_35:
	s_endpgm
	.section	.rodata,"a",@progbits
	.p2align	6, 0x0
	.amdhsa_kernel _ZN4vllm17activation_kernelIN3c108BFloat16ETnPFT_RKS3_EXadL_ZNS_15gelu_new_kernelIS2_EES3_S5_EELb1ELb0EEEvPS3_PS4_i
		.amdhsa_group_segment_fixed_size 0
		.amdhsa_private_segment_fixed_size 0
		.amdhsa_kernarg_size 280
		.amdhsa_user_sgpr_count 6
		.amdhsa_user_sgpr_private_segment_buffer 1
		.amdhsa_user_sgpr_dispatch_ptr 0
		.amdhsa_user_sgpr_queue_ptr 0
		.amdhsa_user_sgpr_kernarg_segment_ptr 1
		.amdhsa_user_sgpr_dispatch_id 0
		.amdhsa_user_sgpr_flat_scratch_init 0
		.amdhsa_user_sgpr_kernarg_preload_length 0
		.amdhsa_user_sgpr_kernarg_preload_offset 0
		.amdhsa_user_sgpr_private_segment_size 0
		.amdhsa_uses_dynamic_stack 0
		.amdhsa_system_sgpr_private_segment_wavefront_offset 0
		.amdhsa_system_sgpr_workgroup_id_x 1
		.amdhsa_system_sgpr_workgroup_id_y 0
		.amdhsa_system_sgpr_workgroup_id_z 0
		.amdhsa_system_sgpr_workgroup_info 0
		.amdhsa_system_vgpr_workitem_id 0
		.amdhsa_next_free_vgpr 39
		.amdhsa_next_free_sgpr 19
		.amdhsa_accum_offset 40
		.amdhsa_reserve_vcc 1
		.amdhsa_reserve_flat_scratch 0
		.amdhsa_float_round_mode_32 0
		.amdhsa_float_round_mode_16_64 0
		.amdhsa_float_denorm_mode_32 3
		.amdhsa_float_denorm_mode_16_64 3
		.amdhsa_dx10_clamp 1
		.amdhsa_ieee_mode 1
		.amdhsa_fp16_overflow 0
		.amdhsa_tg_split 0
		.amdhsa_exception_fp_ieee_invalid_op 0
		.amdhsa_exception_fp_denorm_src 0
		.amdhsa_exception_fp_ieee_div_zero 0
		.amdhsa_exception_fp_ieee_overflow 0
		.amdhsa_exception_fp_ieee_underflow 0
		.amdhsa_exception_fp_ieee_inexact 0
		.amdhsa_exception_int_div_zero 0
	.end_amdhsa_kernel
	.section	.text._ZN4vllm17activation_kernelIN3c108BFloat16ETnPFT_RKS3_EXadL_ZNS_15gelu_new_kernelIS2_EES3_S5_EELb1ELb0EEEvPS3_PS4_i,"axG",@progbits,_ZN4vllm17activation_kernelIN3c108BFloat16ETnPFT_RKS3_EXadL_ZNS_15gelu_new_kernelIS2_EES3_S5_EELb1ELb0EEEvPS3_PS4_i,comdat
.Lfunc_end64:
	.size	_ZN4vllm17activation_kernelIN3c108BFloat16ETnPFT_RKS3_EXadL_ZNS_15gelu_new_kernelIS2_EES3_S5_EELb1ELb0EEEvPS3_PS4_i, .Lfunc_end64-_ZN4vllm17activation_kernelIN3c108BFloat16ETnPFT_RKS3_EXadL_ZNS_15gelu_new_kernelIS2_EES3_S5_EELb1ELb0EEEvPS3_PS4_i
                                        ; -- End function
	.section	.AMDGPU.csdata,"",@progbits
; Kernel info:
; codeLenInByte = 4616
; NumSgprs: 23
; NumVgprs: 39
; NumAgprs: 0
; TotalNumVgprs: 39
; ScratchSize: 0
; MemoryBound: 0
; FloatMode: 240
; IeeeMode: 1
; LDSByteSize: 0 bytes/workgroup (compile time only)
; SGPRBlocks: 2
; VGPRBlocks: 4
; NumSGPRsForWavesPerEU: 23
; NumVGPRsForWavesPerEU: 39
; AccumOffset: 40
; Occupancy: 8
; WaveLimiterHint : 0
; COMPUTE_PGM_RSRC2:SCRATCH_EN: 0
; COMPUTE_PGM_RSRC2:USER_SGPR: 6
; COMPUTE_PGM_RSRC2:TRAP_HANDLER: 0
; COMPUTE_PGM_RSRC2:TGID_X_EN: 1
; COMPUTE_PGM_RSRC2:TGID_Y_EN: 0
; COMPUTE_PGM_RSRC2:TGID_Z_EN: 0
; COMPUTE_PGM_RSRC2:TIDIG_COMP_CNT: 0
; COMPUTE_PGM_RSRC3_GFX90A:ACCUM_OFFSET: 9
; COMPUTE_PGM_RSRC3_GFX90A:TG_SPLIT: 0
	.section	.text._ZN4vllm17activation_kernelIfTnPFT_RKS1_EXadL_ZNS_15gelu_new_kernelIfEES1_S3_EELb0ELb0EEEvPS1_PS2_i,"axG",@progbits,_ZN4vllm17activation_kernelIfTnPFT_RKS1_EXadL_ZNS_15gelu_new_kernelIfEES1_S3_EELb0ELb0EEEvPS1_PS2_i,comdat
	.protected	_ZN4vllm17activation_kernelIfTnPFT_RKS1_EXadL_ZNS_15gelu_new_kernelIfEES1_S3_EELb0ELb0EEEvPS1_PS2_i ; -- Begin function _ZN4vllm17activation_kernelIfTnPFT_RKS1_EXadL_ZNS_15gelu_new_kernelIfEES1_S3_EELb0ELb0EEEvPS1_PS2_i
	.globl	_ZN4vllm17activation_kernelIfTnPFT_RKS1_EXadL_ZNS_15gelu_new_kernelIfEES1_S3_EELb0ELb0EEEvPS1_PS2_i
	.p2align	8
	.type	_ZN4vllm17activation_kernelIfTnPFT_RKS1_EXadL_ZNS_15gelu_new_kernelIfEES1_S3_EELb0ELb0EEEvPS1_PS2_i,@function
_ZN4vllm17activation_kernelIfTnPFT_RKS1_EXadL_ZNS_15gelu_new_kernelIfEES1_S3_EELb0ELb0EEEvPS1_PS2_i: ; @_ZN4vllm17activation_kernelIfTnPFT_RKS1_EXadL_ZNS_15gelu_new_kernelIfEES1_S3_EELb0ELb0EEEvPS1_PS2_i
; %bb.0:
	s_load_dword s8, s[4:5], 0x10
	s_waitcnt lgkmcnt(0)
	v_cmp_gt_i32_e32 vcc, s8, v0
	s_and_saveexec_b64 s[0:1], vcc
	s_cbranch_execz .LBB65_7
; %bb.1:
	s_load_dwordx4 s[0:3], s[4:5], 0x0
	s_load_dword s10, s[4:5], 0x24
	s_mul_i32 s6, s6, s8
	s_mov_b32 s7, 0
	v_lshlrev_b32_e32 v2, 2, v0
	s_lshl_b64 s[4:5], s[6:7], 2
	s_waitcnt lgkmcnt(0)
	s_and_b32 s10, s10, 0xffff
	v_mov_b32_e32 v3, s5
	v_add_co_u32_e32 v2, vcc, s4, v2
	s_ashr_i32 s9, s8, 31
	v_mov_b32_e32 v1, 0
	v_addc_co_u32_e32 v3, vcc, 0, v3, vcc
	s_lshl_b32 s11, s10, 2
	s_mov_b64 s[4:5], 0
	v_mov_b32_e32 v4, s3
	s_mov_b32 s3, 0x3f200000
	s_mov_b32 s12, 0x3fb8aa3b
	;; [unrolled: 1-line block ×4, first 2 shown]
	v_mov_b32_e32 v5, 0xbd5c1c4e
	v_mov_b32_e32 v6, 0x3e088382
	;; [unrolled: 1-line block ×3, first 2 shown]
	s_brev_b32 s15, -2
	v_mov_b32_e32 v8, s1
	v_mov_b32_e32 v9, s7
	;; [unrolled: 1-line block ×4, first 2 shown]
	s_branch .LBB65_3
.LBB65_2:                               ;   in Loop: Header=BB65_3 Depth=1
	s_or_b64 exec, exec, s[6:7]
	v_bfi_b32 v13, s15, v14, v13
	v_mul_f32_e32 v12, 0.5, v12
	v_add_f32_e32 v13, 1.0, v13
	v_mul_f32_e32 v14, v12, v13
	v_add_co_u32_e32 v12, vcc, s0, v2
	v_addc_co_u32_e32 v13, vcc, v8, v3, vcc
	v_add_co_u32_e32 v0, vcc, s10, v0
	v_addc_co_u32_e32 v1, vcc, v1, v9, vcc
	v_cmp_le_i64_e32 vcc, s[8:9], v[0:1]
	s_or_b64 s[4:5], vcc, s[4:5]
	v_add_co_u32_e32 v2, vcc, s11, v2
	v_addc_co_u32_e32 v3, vcc, v3, v10, vcc
	global_store_dword v[12:13], v14, off
	s_andn2_b64 exec, exec, s[4:5]
	s_cbranch_execz .LBB65_7
.LBB65_3:                               ; =>This Inner Loop Header: Depth=1
	v_add_co_u32_e32 v12, vcc, s2, v2
	v_addc_co_u32_e32 v13, vcc, v4, v3, vcc
	global_load_dword v12, v[12:13], off
	s_waitcnt vmcnt(0)
	v_mul_f32_e32 v13, v12, v12
	v_mul_f32_e32 v13, v12, v13
	v_mov_b32_e32 v14, v12
	v_fmac_f32_e32 v14, 0x3d372713, v13
	v_mul_f32_e32 v13, 0x3f4c422a, v14
	v_cmp_nlt_f32_e64 s[6:7], |v13|, s3
                                        ; implicit-def: $vgpr14
	s_and_saveexec_b64 s[16:17], s[6:7]
	s_xor_b64 s[6:7], exec, s[16:17]
	s_cbranch_execz .LBB65_5
; %bb.4:                                ;   in Loop: Header=BB65_3 Depth=1
	v_add_f32_e64 v14, |v13|, |v13|
	v_mul_f32_e32 v15, 0x3fb8aa3b, v14
	v_rndne_f32_e32 v16, v15
	v_sub_f32_e32 v17, v15, v16
	v_fma_f32 v15, v14, s12, -v15
	v_fmac_f32_e32 v15, 0x32a5705f, v14
	v_add_f32_e32 v15, v17, v15
	v_cvt_i32_f32_e32 v16, v16
	v_exp_f32_e32 v15, v15
	v_cmp_ngt_f32_e32 vcc, s13, v14
	v_ldexp_f32 v15, v15, v16
	v_cndmask_b32_e32 v15, 0, v15, vcc
	v_cmp_nlt_f32_e32 vcc, s14, v14
	v_cndmask_b32_e32 v14, v11, v15, vcc
	v_add_f32_e32 v14, 1.0, v14
	v_rcp_f32_e32 v14, v14
	v_fma_f32 v14, v14, -2.0, 1.0
.LBB65_5:                               ;   in Loop: Header=BB65_3 Depth=1
	s_andn2_saveexec_b64 s[6:7], s[6:7]
	s_cbranch_execz .LBB65_2
; %bb.6:                                ;   in Loop: Header=BB65_3 Depth=1
	v_mul_f32_e32 v14, v13, v13
	v_mov_b32_e32 v15, 0x3ca908c9
	v_fmac_f32_e32 v15, 0xbbbac73d, v14
	v_fma_f32 v15, v14, v15, v5
	v_fma_f32 v15, v14, v15, v6
	;; [unrolled: 1-line block ×3, first 2 shown]
	v_mul_f32_e64 v15, |v13|, v15
	v_fma_f32 v14, v14, v15, |v13|
	s_branch .LBB65_2
.LBB65_7:
	s_endpgm
	.section	.rodata,"a",@progbits
	.p2align	6, 0x0
	.amdhsa_kernel _ZN4vllm17activation_kernelIfTnPFT_RKS1_EXadL_ZNS_15gelu_new_kernelIfEES1_S3_EELb0ELb0EEEvPS1_PS2_i
		.amdhsa_group_segment_fixed_size 0
		.amdhsa_private_segment_fixed_size 0
		.amdhsa_kernarg_size 280
		.amdhsa_user_sgpr_count 6
		.amdhsa_user_sgpr_private_segment_buffer 1
		.amdhsa_user_sgpr_dispatch_ptr 0
		.amdhsa_user_sgpr_queue_ptr 0
		.amdhsa_user_sgpr_kernarg_segment_ptr 1
		.amdhsa_user_sgpr_dispatch_id 0
		.amdhsa_user_sgpr_flat_scratch_init 0
		.amdhsa_user_sgpr_kernarg_preload_length 0
		.amdhsa_user_sgpr_kernarg_preload_offset 0
		.amdhsa_user_sgpr_private_segment_size 0
		.amdhsa_uses_dynamic_stack 0
		.amdhsa_system_sgpr_private_segment_wavefront_offset 0
		.amdhsa_system_sgpr_workgroup_id_x 1
		.amdhsa_system_sgpr_workgroup_id_y 0
		.amdhsa_system_sgpr_workgroup_id_z 0
		.amdhsa_system_sgpr_workgroup_info 0
		.amdhsa_system_vgpr_workitem_id 0
		.amdhsa_next_free_vgpr 18
		.amdhsa_next_free_sgpr 18
		.amdhsa_accum_offset 20
		.amdhsa_reserve_vcc 1
		.amdhsa_reserve_flat_scratch 0
		.amdhsa_float_round_mode_32 0
		.amdhsa_float_round_mode_16_64 0
		.amdhsa_float_denorm_mode_32 3
		.amdhsa_float_denorm_mode_16_64 3
		.amdhsa_dx10_clamp 1
		.amdhsa_ieee_mode 1
		.amdhsa_fp16_overflow 0
		.amdhsa_tg_split 0
		.amdhsa_exception_fp_ieee_invalid_op 0
		.amdhsa_exception_fp_denorm_src 0
		.amdhsa_exception_fp_ieee_div_zero 0
		.amdhsa_exception_fp_ieee_overflow 0
		.amdhsa_exception_fp_ieee_underflow 0
		.amdhsa_exception_fp_ieee_inexact 0
		.amdhsa_exception_int_div_zero 0
	.end_amdhsa_kernel
	.section	.text._ZN4vllm17activation_kernelIfTnPFT_RKS1_EXadL_ZNS_15gelu_new_kernelIfEES1_S3_EELb0ELb0EEEvPS1_PS2_i,"axG",@progbits,_ZN4vllm17activation_kernelIfTnPFT_RKS1_EXadL_ZNS_15gelu_new_kernelIfEES1_S3_EELb0ELb0EEEvPS1_PS2_i,comdat
.Lfunc_end65:
	.size	_ZN4vllm17activation_kernelIfTnPFT_RKS1_EXadL_ZNS_15gelu_new_kernelIfEES1_S3_EELb0ELb0EEEvPS1_PS2_i, .Lfunc_end65-_ZN4vllm17activation_kernelIfTnPFT_RKS1_EXadL_ZNS_15gelu_new_kernelIfEES1_S3_EELb0ELb0EEEvPS1_PS2_i
                                        ; -- End function
	.section	.AMDGPU.csdata,"",@progbits
; Kernel info:
; codeLenInByte = 492
; NumSgprs: 22
; NumVgprs: 18
; NumAgprs: 0
; TotalNumVgprs: 18
; ScratchSize: 0
; MemoryBound: 0
; FloatMode: 240
; IeeeMode: 1
; LDSByteSize: 0 bytes/workgroup (compile time only)
; SGPRBlocks: 2
; VGPRBlocks: 2
; NumSGPRsForWavesPerEU: 22
; NumVGPRsForWavesPerEU: 18
; AccumOffset: 20
; Occupancy: 8
; WaveLimiterHint : 0
; COMPUTE_PGM_RSRC2:SCRATCH_EN: 0
; COMPUTE_PGM_RSRC2:USER_SGPR: 6
; COMPUTE_PGM_RSRC2:TRAP_HANDLER: 0
; COMPUTE_PGM_RSRC2:TGID_X_EN: 1
; COMPUTE_PGM_RSRC2:TGID_Y_EN: 0
; COMPUTE_PGM_RSRC2:TGID_Z_EN: 0
; COMPUTE_PGM_RSRC2:TIDIG_COMP_CNT: 0
; COMPUTE_PGM_RSRC3_GFX90A:ACCUM_OFFSET: 4
; COMPUTE_PGM_RSRC3_GFX90A:TG_SPLIT: 0
	.section	.text._ZN4vllm17activation_kernelIN3c104HalfETnPFT_RKS3_EXadL_ZNS_15gelu_new_kernelIS2_EES3_S5_EELb0ELb0EEEvPS3_PS4_i,"axG",@progbits,_ZN4vllm17activation_kernelIN3c104HalfETnPFT_RKS3_EXadL_ZNS_15gelu_new_kernelIS2_EES3_S5_EELb0ELb0EEEvPS3_PS4_i,comdat
	.protected	_ZN4vllm17activation_kernelIN3c104HalfETnPFT_RKS3_EXadL_ZNS_15gelu_new_kernelIS2_EES3_S5_EELb0ELb0EEEvPS3_PS4_i ; -- Begin function _ZN4vllm17activation_kernelIN3c104HalfETnPFT_RKS3_EXadL_ZNS_15gelu_new_kernelIS2_EES3_S5_EELb0ELb0EEEvPS3_PS4_i
	.globl	_ZN4vllm17activation_kernelIN3c104HalfETnPFT_RKS3_EXadL_ZNS_15gelu_new_kernelIS2_EES3_S5_EELb0ELb0EEEvPS3_PS4_i
	.p2align	8
	.type	_ZN4vllm17activation_kernelIN3c104HalfETnPFT_RKS3_EXadL_ZNS_15gelu_new_kernelIS2_EES3_S5_EELb0ELb0EEEvPS3_PS4_i,@function
_ZN4vllm17activation_kernelIN3c104HalfETnPFT_RKS3_EXadL_ZNS_15gelu_new_kernelIS2_EES3_S5_EELb0ELb0EEEvPS3_PS4_i: ; @_ZN4vllm17activation_kernelIN3c104HalfETnPFT_RKS3_EXadL_ZNS_15gelu_new_kernelIS2_EES3_S5_EELb0ELb0EEEvPS3_PS4_i
; %bb.0:
	s_load_dword s8, s[4:5], 0x10
	s_waitcnt lgkmcnt(0)
	v_cmp_gt_i32_e32 vcc, s8, v0
	s_and_saveexec_b64 s[0:1], vcc
	s_cbranch_execz .LBB66_7
; %bb.1:
	s_load_dwordx4 s[0:3], s[4:5], 0x0
	s_load_dword s10, s[4:5], 0x24
	s_mul_i32 s6, s6, s8
	s_mov_b32 s7, 0
	v_lshlrev_b32_e32 v2, 1, v0
	s_lshl_b64 s[4:5], s[6:7], 1
	s_waitcnt lgkmcnt(0)
	s_and_b32 s10, s10, 0xffff
	v_mov_b32_e32 v3, s5
	v_add_co_u32_e32 v2, vcc, s4, v2
	s_ashr_i32 s9, s8, 31
	v_mov_b32_e32 v1, 0
	v_addc_co_u32_e32 v3, vcc, 0, v3, vcc
	s_lshl_b32 s11, s10, 1
	s_mov_b64 s[4:5], 0
	v_mov_b32_e32 v4, s3
	s_mov_b32 s3, 0x3d372713
	s_mov_b32 s12, 0x3f4c422a
	;; [unrolled: 1-line block ×6, first 2 shown]
	v_mov_b32_e32 v5, 0xbd5c1c4e
	v_mov_b32_e32 v6, 0x3e088382
	;; [unrolled: 1-line block ×3, first 2 shown]
	s_movk_i32 s17, 0x7fff
	v_mov_b32_e32 v8, s1
	v_mov_b32_e32 v9, s7
	;; [unrolled: 1-line block ×4, first 2 shown]
	s_branch .LBB66_3
.LBB66_2:                               ;   in Loop: Header=BB66_3 Depth=1
	s_or_b64 exec, exec, s[6:7]
	v_cvt_f16_f32_e32 v14, v14
	v_lshrrev_b32_e32 v13, 16, v13
	v_mul_f16_e32 v12, 0.5, v12
	v_bfi_b32 v13, s17, v14, v13
	v_add_f16_e32 v13, 1.0, v13
	v_mul_f16_e32 v14, v12, v13
	v_add_co_u32_e32 v12, vcc, s0, v2
	v_addc_co_u32_e32 v13, vcc, v8, v3, vcc
	v_add_co_u32_e32 v0, vcc, s10, v0
	v_addc_co_u32_e32 v1, vcc, v1, v9, vcc
	v_cmp_le_i64_e32 vcc, s[8:9], v[0:1]
	s_or_b64 s[4:5], vcc, s[4:5]
	v_add_co_u32_e32 v2, vcc, s11, v2
	v_addc_co_u32_e32 v3, vcc, v3, v10, vcc
	global_store_short v[12:13], v14, off
	s_andn2_b64 exec, exec, s[4:5]
	s_cbranch_execz .LBB66_7
.LBB66_3:                               ; =>This Inner Loop Header: Depth=1
	v_add_co_u32_e32 v12, vcc, s2, v2
	v_addc_co_u32_e32 v13, vcc, v4, v3, vcc
	global_load_ushort v12, v[12:13], off
                                        ; implicit-def: $vgpr14
	s_waitcnt vmcnt(0)
	v_mul_f16_e32 v13, v12, v12
	v_mul_f16_e32 v13, v12, v13
	v_fma_mixlo_f16 v13, v13, s3, 0 op_sel_hi:[1,0,0]
	v_add_f16_e32 v13, v12, v13
	v_fma_mixlo_f16 v13, v13, s12, 0 op_sel_hi:[1,0,0]
	v_cvt_f32_f16_e32 v13, v13
	v_cmp_nlt_f32_e64 s[6:7], |v13|, s13
	s_and_saveexec_b64 s[18:19], s[6:7]
	s_xor_b64 s[6:7], exec, s[18:19]
	s_cbranch_execz .LBB66_5
; %bb.4:                                ;   in Loop: Header=BB66_3 Depth=1
	v_add_f32_e64 v14, |v13|, |v13|
	v_mul_f32_e32 v15, 0x3fb8aa3b, v14
	v_rndne_f32_e32 v16, v15
	v_sub_f32_e32 v17, v15, v16
	v_fma_f32 v15, v14, s14, -v15
	v_fmac_f32_e32 v15, 0x32a5705f, v14
	v_add_f32_e32 v15, v17, v15
	v_cvt_i32_f32_e32 v16, v16
	v_exp_f32_e32 v15, v15
	v_cmp_ngt_f32_e32 vcc, s15, v14
	v_ldexp_f32 v15, v15, v16
	v_cndmask_b32_e32 v15, 0, v15, vcc
	v_cmp_nlt_f32_e32 vcc, s16, v14
	v_cndmask_b32_e32 v14, v11, v15, vcc
	v_add_f32_e32 v14, 1.0, v14
	v_rcp_f32_e32 v14, v14
	v_fma_f32 v14, v14, -2.0, 1.0
.LBB66_5:                               ;   in Loop: Header=BB66_3 Depth=1
	s_andn2_saveexec_b64 s[6:7], s[6:7]
	s_cbranch_execz .LBB66_2
; %bb.6:                                ;   in Loop: Header=BB66_3 Depth=1
	v_mul_f32_e32 v14, v13, v13
	v_mov_b32_e32 v15, 0x3ca908c9
	v_fmac_f32_e32 v15, 0xbbbac73d, v14
	v_fma_f32 v15, v14, v15, v5
	v_fma_f32 v15, v14, v15, v6
	;; [unrolled: 1-line block ×3, first 2 shown]
	v_mul_f32_e64 v15, |v13|, v15
	v_fma_f32 v14, v14, v15, |v13|
	s_branch .LBB66_2
.LBB66_7:
	s_endpgm
	.section	.rodata,"a",@progbits
	.p2align	6, 0x0
	.amdhsa_kernel _ZN4vllm17activation_kernelIN3c104HalfETnPFT_RKS3_EXadL_ZNS_15gelu_new_kernelIS2_EES3_S5_EELb0ELb0EEEvPS3_PS4_i
		.amdhsa_group_segment_fixed_size 0
		.amdhsa_private_segment_fixed_size 0
		.amdhsa_kernarg_size 280
		.amdhsa_user_sgpr_count 6
		.amdhsa_user_sgpr_private_segment_buffer 1
		.amdhsa_user_sgpr_dispatch_ptr 0
		.amdhsa_user_sgpr_queue_ptr 0
		.amdhsa_user_sgpr_kernarg_segment_ptr 1
		.amdhsa_user_sgpr_dispatch_id 0
		.amdhsa_user_sgpr_flat_scratch_init 0
		.amdhsa_user_sgpr_kernarg_preload_length 0
		.amdhsa_user_sgpr_kernarg_preload_offset 0
		.amdhsa_user_sgpr_private_segment_size 0
		.amdhsa_uses_dynamic_stack 0
		.amdhsa_system_sgpr_private_segment_wavefront_offset 0
		.amdhsa_system_sgpr_workgroup_id_x 1
		.amdhsa_system_sgpr_workgroup_id_y 0
		.amdhsa_system_sgpr_workgroup_id_z 0
		.amdhsa_system_sgpr_workgroup_info 0
		.amdhsa_system_vgpr_workitem_id 0
		.amdhsa_next_free_vgpr 18
		.amdhsa_next_free_sgpr 20
		.amdhsa_accum_offset 20
		.amdhsa_reserve_vcc 1
		.amdhsa_reserve_flat_scratch 0
		.amdhsa_float_round_mode_32 0
		.amdhsa_float_round_mode_16_64 0
		.amdhsa_float_denorm_mode_32 3
		.amdhsa_float_denorm_mode_16_64 3
		.amdhsa_dx10_clamp 1
		.amdhsa_ieee_mode 1
		.amdhsa_fp16_overflow 0
		.amdhsa_tg_split 0
		.amdhsa_exception_fp_ieee_invalid_op 0
		.amdhsa_exception_fp_denorm_src 0
		.amdhsa_exception_fp_ieee_div_zero 0
		.amdhsa_exception_fp_ieee_overflow 0
		.amdhsa_exception_fp_ieee_underflow 0
		.amdhsa_exception_fp_ieee_inexact 0
		.amdhsa_exception_int_div_zero 0
	.end_amdhsa_kernel
	.section	.text._ZN4vllm17activation_kernelIN3c104HalfETnPFT_RKS3_EXadL_ZNS_15gelu_new_kernelIS2_EES3_S5_EELb0ELb0EEEvPS3_PS4_i,"axG",@progbits,_ZN4vllm17activation_kernelIN3c104HalfETnPFT_RKS3_EXadL_ZNS_15gelu_new_kernelIS2_EES3_S5_EELb0ELb0EEEvPS3_PS4_i,comdat
.Lfunc_end66:
	.size	_ZN4vllm17activation_kernelIN3c104HalfETnPFT_RKS3_EXadL_ZNS_15gelu_new_kernelIS2_EES3_S5_EELb0ELb0EEEvPS3_PS4_i, .Lfunc_end66-_ZN4vllm17activation_kernelIN3c104HalfETnPFT_RKS3_EXadL_ZNS_15gelu_new_kernelIS2_EES3_S5_EELb0ELb0EEEvPS3_PS4_i
                                        ; -- End function
	.section	.AMDGPU.csdata,"",@progbits
; Kernel info:
; codeLenInByte = 520
; NumSgprs: 24
; NumVgprs: 18
; NumAgprs: 0
; TotalNumVgprs: 18
; ScratchSize: 0
; MemoryBound: 0
; FloatMode: 240
; IeeeMode: 1
; LDSByteSize: 0 bytes/workgroup (compile time only)
; SGPRBlocks: 2
; VGPRBlocks: 2
; NumSGPRsForWavesPerEU: 24
; NumVGPRsForWavesPerEU: 18
; AccumOffset: 20
; Occupancy: 8
; WaveLimiterHint : 0
; COMPUTE_PGM_RSRC2:SCRATCH_EN: 0
; COMPUTE_PGM_RSRC2:USER_SGPR: 6
; COMPUTE_PGM_RSRC2:TRAP_HANDLER: 0
; COMPUTE_PGM_RSRC2:TGID_X_EN: 1
; COMPUTE_PGM_RSRC2:TGID_Y_EN: 0
; COMPUTE_PGM_RSRC2:TGID_Z_EN: 0
; COMPUTE_PGM_RSRC2:TIDIG_COMP_CNT: 0
; COMPUTE_PGM_RSRC3_GFX90A:ACCUM_OFFSET: 4
; COMPUTE_PGM_RSRC3_GFX90A:TG_SPLIT: 0
	.section	.text._ZN4vllm17activation_kernelIN3c108BFloat16ETnPFT_RKS3_EXadL_ZNS_15gelu_new_kernelIS2_EES3_S5_EELb0ELb0EEEvPS3_PS4_i,"axG",@progbits,_ZN4vllm17activation_kernelIN3c108BFloat16ETnPFT_RKS3_EXadL_ZNS_15gelu_new_kernelIS2_EES3_S5_EELb0ELb0EEEvPS3_PS4_i,comdat
	.protected	_ZN4vllm17activation_kernelIN3c108BFloat16ETnPFT_RKS3_EXadL_ZNS_15gelu_new_kernelIS2_EES3_S5_EELb0ELb0EEEvPS3_PS4_i ; -- Begin function _ZN4vllm17activation_kernelIN3c108BFloat16ETnPFT_RKS3_EXadL_ZNS_15gelu_new_kernelIS2_EES3_S5_EELb0ELb0EEEvPS3_PS4_i
	.globl	_ZN4vllm17activation_kernelIN3c108BFloat16ETnPFT_RKS3_EXadL_ZNS_15gelu_new_kernelIS2_EES3_S5_EELb0ELb0EEEvPS3_PS4_i
	.p2align	8
	.type	_ZN4vllm17activation_kernelIN3c108BFloat16ETnPFT_RKS3_EXadL_ZNS_15gelu_new_kernelIS2_EES3_S5_EELb0ELb0EEEvPS3_PS4_i,@function
_ZN4vllm17activation_kernelIN3c108BFloat16ETnPFT_RKS3_EXadL_ZNS_15gelu_new_kernelIS2_EES3_S5_EELb0ELb0EEEvPS3_PS4_i: ; @_ZN4vllm17activation_kernelIN3c108BFloat16ETnPFT_RKS3_EXadL_ZNS_15gelu_new_kernelIS2_EES3_S5_EELb0ELb0EEEvPS3_PS4_i
; %bb.0:
	s_load_dword s2, s[4:5], 0x10
	s_waitcnt lgkmcnt(0)
	v_cmp_gt_i32_e32 vcc, s2, v0
	s_and_saveexec_b64 s[0:1], vcc
	s_cbranch_execz .LBB67_7
; %bb.1:
	s_load_dwordx4 s[8:11], s[4:5], 0x0
	s_load_dword s7, s[4:5], 0x24
	s_mul_i32 s0, s6, s2
	s_mov_b32 s1, 0
	v_lshlrev_b32_e32 v2, 1, v0
	s_lshl_b64 s[4:5], s[0:1], 1
	s_waitcnt lgkmcnt(0)
	s_and_b32 s12, s7, 0xffff
	v_mov_b32_e32 v3, s5
	v_add_co_u32_e32 v2, vcc, s4, v2
	s_ashr_i32 s3, s2, 31
	v_mov_b32_e32 v1, 0
	v_addc_co_u32_e32 v3, vcc, 0, v3, vcc
	s_lshl_b32 s13, s12, 1
	s_mov_b64 s[4:5], 0
	v_mov_b32_e32 v4, s11
	s_movk_i32 s11, 0x7fff
	v_mov_b32_e32 v5, 0x7fc00000
	s_mov_b32 s14, 0x3f200000
	s_mov_b32 s15, 0x3fb8aa3b
	;; [unrolled: 1-line block ×4, first 2 shown]
	v_mov_b32_e32 v6, 0xbd5c1c4e
	v_mov_b32_e32 v7, 0x3e088382
	;; [unrolled: 1-line block ×3, first 2 shown]
	s_brev_b32 s18, -2
	v_mov_b32_e32 v9, 0x7fc0
	v_mov_b32_e32 v10, s9
	;; [unrolled: 1-line block ×5, first 2 shown]
	s_branch .LBB67_3
.LBB67_2:                               ;   in Loop: Header=BB67_3 Depth=1
	s_or_b64 exec, exec, s[0:1]
	v_bfi_b32 v15, s18, v16, v15
	v_bfe_u32 v16, v15, 16, 1
	v_add3_u32 v16, v15, v16, s11
	v_and_b32_e32 v16, 0xffff0000, v16
	v_add_f32_e32 v16, 1.0, v16
	v_cmp_o_f32_e32 vcc, v15, v15
	v_cndmask_b32_e32 v15, v5, v16, vcc
	v_mul_f32_e32 v14, 0.5, v14
	v_bfe_u32 v16, v15, 16, 1
	v_bfe_u32 v17, v14, 16, 1
	v_add3_u32 v16, v15, v16, s11
	v_add3_u32 v17, v14, v17, s11
	v_and_b32_e32 v16, 0xffff0000, v16
	v_cmp_o_f32_e32 vcc, v15, v15
	v_and_b32_e32 v17, 0xffff0000, v17
	v_cndmask_b32_e32 v15, v5, v16, vcc
	v_cmp_o_f32_e32 vcc, v14, v14
	v_cndmask_b32_e32 v14, v5, v17, vcc
	v_mul_f32_e32 v14, v14, v15
	v_bfe_u32 v15, v14, 16, 1
	v_add3_u32 v15, v14, v15, s11
	v_lshrrev_b32_e32 v15, 16, v15
	v_cmp_o_f32_e32 vcc, v14, v14
	v_cndmask_b32_e32 v16, v9, v15, vcc
	v_add_co_u32_e32 v14, vcc, s8, v2
	v_addc_co_u32_e32 v15, vcc, v10, v3, vcc
	v_add_co_u32_e32 v0, vcc, s12, v0
	v_addc_co_u32_e32 v1, vcc, v1, v11, vcc
	v_cmp_le_i64_e32 vcc, s[2:3], v[0:1]
	s_or_b64 s[4:5], vcc, s[4:5]
	v_add_co_u32_e32 v2, vcc, s13, v2
	v_addc_co_u32_e32 v3, vcc, v3, v12, vcc
	global_store_short v[14:15], v16, off
	s_andn2_b64 exec, exec, s[4:5]
	s_cbranch_execz .LBB67_7
.LBB67_3:                               ; =>This Inner Loop Header: Depth=1
	v_add_co_u32_e32 v14, vcc, s10, v2
	v_addc_co_u32_e32 v15, vcc, v4, v3, vcc
	global_load_ushort v14, v[14:15], off
	s_waitcnt vmcnt(0)
	v_lshlrev_b32_e32 v14, 16, v14
	v_mul_f32_e32 v15, v14, v14
	v_bfe_u32 v16, v15, 16, 1
	v_add3_u32 v16, v15, v16, s11
	v_and_b32_e32 v16, 0xffff0000, v16
	v_cmp_o_f32_e32 vcc, v15, v15
	v_cndmask_b32_e32 v15, v5, v16, vcc
	v_mul_f32_e32 v15, v15, v14
	v_bfe_u32 v16, v15, 16, 1
	v_add3_u32 v16, v15, v16, s11
	v_and_b32_e32 v16, 0xffff0000, v16
	v_mul_f32_e32 v16, 0x3d372713, v16
	v_cmp_o_f32_e32 vcc, v15, v15
	v_cndmask_b32_e32 v15, v5, v16, vcc
	v_bfe_u32 v16, v15, 16, 1
	v_add3_u32 v16, v15, v16, s11
	v_and_b32_e32 v16, 0xffff0000, v16
	v_cmp_o_f32_e32 vcc, v15, v15
	v_cndmask_b32_e32 v15, v5, v16, vcc
	v_add_f32_e32 v15, v15, v14
	v_bfe_u32 v16, v15, 16, 1
	v_add3_u32 v16, v15, v16, s11
	v_and_b32_e32 v16, 0xffff0000, v16
	v_mul_f32_e32 v16, 0x3f4c422a, v16
	v_cmp_o_f32_e32 vcc, v15, v15
	v_cndmask_b32_e32 v16, v5, v16, vcc
	v_bfe_u32 v15, v16, 16, 1
	v_add3_u32 v15, v16, v15, s11
	v_and_b32_e32 v15, 0xffff0000, v15
	v_cmp_u_f32_e32 vcc, v16, v16
	v_cndmask_b32_e64 v16, |v15|, v5, vcc
	v_cmp_ngt_f32_e64 s[0:1], s14, v16
	s_and_saveexec_b64 s[6:7], s[0:1]
	s_xor_b64 s[6:7], exec, s[6:7]
	s_cbranch_execz .LBB67_5
; %bb.4:                                ;   in Loop: Header=BB67_3 Depth=1
	v_add_f32_e32 v16, v16, v16
	v_mul_f32_e32 v17, 0x3fb8aa3b, v16
	v_rndne_f32_e32 v18, v17
	v_sub_f32_e32 v19, v17, v18
	v_fma_f32 v17, v16, s15, -v17
	v_fmac_f32_e32 v17, 0x32a5705f, v16
	v_add_f32_e32 v17, v19, v17
	v_cvt_i32_f32_e32 v18, v18
	v_exp_f32_e32 v17, v17
	v_cmp_ngt_f32_e64 s[0:1], s16, v16
	v_ldexp_f32 v17, v17, v18
	v_cndmask_b32_e64 v17, 0, v17, s[0:1]
	v_cmp_nlt_f32_e64 s[0:1], s17, v16
	v_cndmask_b32_e64 v16, v13, v17, s[0:1]
	v_add_f32_e32 v16, 1.0, v16
	v_rcp_f32_e32 v16, v16
	v_fma_f32 v16, v16, -2.0, 1.0
.LBB67_5:                               ;   in Loop: Header=BB67_3 Depth=1
	s_or_saveexec_b64 s[0:1], s[6:7]
	v_cndmask_b32_e32 v15, v15, v5, vcc
	s_xor_b64 exec, exec, s[0:1]
	s_cbranch_execz .LBB67_2
; %bb.6:                                ;   in Loop: Header=BB67_3 Depth=1
	v_mul_f32_e32 v17, v15, v15
	v_mov_b32_e32 v18, 0x3ca908c9
	v_fmac_f32_e32 v18, 0xbbbac73d, v17
	v_fma_f32 v18, v17, v18, v6
	v_fma_f32 v18, v17, v18, v7
	v_fma_f32 v18, v17, v18, v8
	v_mul_f32_e32 v18, v16, v18
	v_fmac_f32_e32 v16, v17, v18
	s_branch .LBB67_2
.LBB67_7:
	s_endpgm
	.section	.rodata,"a",@progbits
	.p2align	6, 0x0
	.amdhsa_kernel _ZN4vllm17activation_kernelIN3c108BFloat16ETnPFT_RKS3_EXadL_ZNS_15gelu_new_kernelIS2_EES3_S5_EELb0ELb0EEEvPS3_PS4_i
		.amdhsa_group_segment_fixed_size 0
		.amdhsa_private_segment_fixed_size 0
		.amdhsa_kernarg_size 280
		.amdhsa_user_sgpr_count 6
		.amdhsa_user_sgpr_private_segment_buffer 1
		.amdhsa_user_sgpr_dispatch_ptr 0
		.amdhsa_user_sgpr_queue_ptr 0
		.amdhsa_user_sgpr_kernarg_segment_ptr 1
		.amdhsa_user_sgpr_dispatch_id 0
		.amdhsa_user_sgpr_flat_scratch_init 0
		.amdhsa_user_sgpr_kernarg_preload_length 0
		.amdhsa_user_sgpr_kernarg_preload_offset 0
		.amdhsa_user_sgpr_private_segment_size 0
		.amdhsa_uses_dynamic_stack 0
		.amdhsa_system_sgpr_private_segment_wavefront_offset 0
		.amdhsa_system_sgpr_workgroup_id_x 1
		.amdhsa_system_sgpr_workgroup_id_y 0
		.amdhsa_system_sgpr_workgroup_id_z 0
		.amdhsa_system_sgpr_workgroup_info 0
		.amdhsa_system_vgpr_workitem_id 0
		.amdhsa_next_free_vgpr 20
		.amdhsa_next_free_sgpr 19
		.amdhsa_accum_offset 20
		.amdhsa_reserve_vcc 1
		.amdhsa_reserve_flat_scratch 0
		.amdhsa_float_round_mode_32 0
		.amdhsa_float_round_mode_16_64 0
		.amdhsa_float_denorm_mode_32 3
		.amdhsa_float_denorm_mode_16_64 3
		.amdhsa_dx10_clamp 1
		.amdhsa_ieee_mode 1
		.amdhsa_fp16_overflow 0
		.amdhsa_tg_split 0
		.amdhsa_exception_fp_ieee_invalid_op 0
		.amdhsa_exception_fp_denorm_src 0
		.amdhsa_exception_fp_ieee_div_zero 0
		.amdhsa_exception_fp_ieee_overflow 0
		.amdhsa_exception_fp_ieee_underflow 0
		.amdhsa_exception_fp_ieee_inexact 0
		.amdhsa_exception_int_div_zero 0
	.end_amdhsa_kernel
	.section	.text._ZN4vllm17activation_kernelIN3c108BFloat16ETnPFT_RKS3_EXadL_ZNS_15gelu_new_kernelIS2_EES3_S5_EELb0ELb0EEEvPS3_PS4_i,"axG",@progbits,_ZN4vllm17activation_kernelIN3c108BFloat16ETnPFT_RKS3_EXadL_ZNS_15gelu_new_kernelIS2_EES3_S5_EELb0ELb0EEEvPS3_PS4_i,comdat
.Lfunc_end67:
	.size	_ZN4vllm17activation_kernelIN3c108BFloat16ETnPFT_RKS3_EXadL_ZNS_15gelu_new_kernelIS2_EES3_S5_EELb0ELb0EEEvPS3_PS4_i, .Lfunc_end67-_ZN4vllm17activation_kernelIN3c108BFloat16ETnPFT_RKS3_EXadL_ZNS_15gelu_new_kernelIS2_EES3_S5_EELb0ELb0EEEvPS3_PS4_i
                                        ; -- End function
	.section	.AMDGPU.csdata,"",@progbits
; Kernel info:
; codeLenInByte = 816
; NumSgprs: 23
; NumVgprs: 20
; NumAgprs: 0
; TotalNumVgprs: 20
; ScratchSize: 0
; MemoryBound: 0
; FloatMode: 240
; IeeeMode: 1
; LDSByteSize: 0 bytes/workgroup (compile time only)
; SGPRBlocks: 2
; VGPRBlocks: 2
; NumSGPRsForWavesPerEU: 23
; NumVGPRsForWavesPerEU: 20
; AccumOffset: 20
; Occupancy: 8
; WaveLimiterHint : 0
; COMPUTE_PGM_RSRC2:SCRATCH_EN: 0
; COMPUTE_PGM_RSRC2:USER_SGPR: 6
; COMPUTE_PGM_RSRC2:TRAP_HANDLER: 0
; COMPUTE_PGM_RSRC2:TGID_X_EN: 1
; COMPUTE_PGM_RSRC2:TGID_Y_EN: 0
; COMPUTE_PGM_RSRC2:TGID_Z_EN: 0
; COMPUTE_PGM_RSRC2:TIDIG_COMP_CNT: 0
; COMPUTE_PGM_RSRC3_GFX90A:ACCUM_OFFSET: 4
; COMPUTE_PGM_RSRC3_GFX90A:TG_SPLIT: 0
	.section	.text._ZN4vllm17activation_kernelIfTnPFT_RKS1_EXadL_ZNS_16gelu_fast_kernelIfEES1_S3_EELb1ELb1EEEvPS1_PS2_i,"axG",@progbits,_ZN4vllm17activation_kernelIfTnPFT_RKS1_EXadL_ZNS_16gelu_fast_kernelIfEES1_S3_EELb1ELb1EEEvPS1_PS2_i,comdat
	.protected	_ZN4vllm17activation_kernelIfTnPFT_RKS1_EXadL_ZNS_16gelu_fast_kernelIfEES1_S3_EELb1ELb1EEEvPS1_PS2_i ; -- Begin function _ZN4vllm17activation_kernelIfTnPFT_RKS1_EXadL_ZNS_16gelu_fast_kernelIfEES1_S3_EELb1ELb1EEEvPS1_PS2_i
	.globl	_ZN4vllm17activation_kernelIfTnPFT_RKS1_EXadL_ZNS_16gelu_fast_kernelIfEES1_S3_EELb1ELb1EEEvPS1_PS2_i
	.p2align	8
	.type	_ZN4vllm17activation_kernelIfTnPFT_RKS1_EXadL_ZNS_16gelu_fast_kernelIfEES1_S3_EELb1ELb1EEEvPS1_PS2_i,@function
_ZN4vllm17activation_kernelIfTnPFT_RKS1_EXadL_ZNS_16gelu_fast_kernelIfEES1_S3_EELb1ELb1EEEvPS1_PS2_i: ; @_ZN4vllm17activation_kernelIfTnPFT_RKS1_EXadL_ZNS_16gelu_fast_kernelIfEES1_S3_EELb1ELb1EEEvPS1_PS2_i
; %bb.0:
	s_add_u32 flat_scratch_lo, s6, s9
	s_load_dword s6, s[4:5], 0x10
	s_addc_u32 flat_scratch_hi, s7, 0
	s_add_u32 s0, s0, s9
	s_addc_u32 s1, s1, 0
	s_mov_b32 s32, 0
	s_waitcnt lgkmcnt(0)
	s_ashr_i32 s7, s6, 31
	s_lshr_b32 s7, s7, 29
	s_add_i32 s6, s6, s7
	s_ashr_i32 s6, s6, 3
	v_cmp_gt_i32_e32 vcc, s6, v0
	s_and_saveexec_b64 s[6:7], vcc
	s_cbranch_execz .LBB68_2
; %bb.1:
	s_add_u32 s8, s4, 24
	s_addc_u32 s9, s5, 0
	s_getpc_b64 s[4:5]
	s_add_u32 s4, s4, .str@rel32@lo+4
	s_addc_u32 s5, s5, .str@rel32@hi+12
	s_getpc_b64 s[6:7]
	s_add_u32 s6, s6, __PRETTY_FUNCTION__._ZN4vllm5ld256ERNS_7u32x8_tEPKS0_@rel32@lo+4
	s_addc_u32 s7, s7, __PRETTY_FUNCTION__._ZN4vllm5ld256ERNS_7u32x8_tEPKS0_@rel32@hi+12
	v_mov_b32_e32 v0, s4
	v_mov_b32_e32 v1, s5
	;; [unrolled: 1-line block ×5, first 2 shown]
	s_getpc_b64 s[10:11]
	s_add_u32 s10, s10, __assert_fail@rel32@lo+4
	s_addc_u32 s11, s11, __assert_fail@rel32@hi+12
	s_swappc_b64 s[30:31], s[10:11]
	; divergent unreachable
.LBB68_2:
	s_endpgm
	.section	.rodata,"a",@progbits
	.p2align	6, 0x0
	.amdhsa_kernel _ZN4vllm17activation_kernelIfTnPFT_RKS1_EXadL_ZNS_16gelu_fast_kernelIfEES1_S3_EELb1ELb1EEEvPS1_PS2_i
		.amdhsa_group_segment_fixed_size 0
		.amdhsa_private_segment_fixed_size 64
		.amdhsa_kernarg_size 280
		.amdhsa_user_sgpr_count 8
		.amdhsa_user_sgpr_private_segment_buffer 1
		.amdhsa_user_sgpr_dispatch_ptr 0
		.amdhsa_user_sgpr_queue_ptr 0
		.amdhsa_user_sgpr_kernarg_segment_ptr 1
		.amdhsa_user_sgpr_dispatch_id 0
		.amdhsa_user_sgpr_flat_scratch_init 1
		.amdhsa_user_sgpr_kernarg_preload_length 0
		.amdhsa_user_sgpr_kernarg_preload_offset 0
		.amdhsa_user_sgpr_private_segment_size 0
		.amdhsa_uses_dynamic_stack 0
		.amdhsa_system_sgpr_private_segment_wavefront_offset 1
		.amdhsa_system_sgpr_workgroup_id_x 1
		.amdhsa_system_sgpr_workgroup_id_y 0
		.amdhsa_system_sgpr_workgroup_id_z 0
		.amdhsa_system_sgpr_workgroup_info 0
		.amdhsa_system_vgpr_workitem_id 0
		.amdhsa_next_free_vgpr 51
		.amdhsa_next_free_sgpr 34
		.amdhsa_accum_offset 52
		.amdhsa_reserve_vcc 1
		.amdhsa_reserve_flat_scratch 1
		.amdhsa_float_round_mode_32 0
		.amdhsa_float_round_mode_16_64 0
		.amdhsa_float_denorm_mode_32 3
		.amdhsa_float_denorm_mode_16_64 3
		.amdhsa_dx10_clamp 1
		.amdhsa_ieee_mode 1
		.amdhsa_fp16_overflow 0
		.amdhsa_tg_split 0
		.amdhsa_exception_fp_ieee_invalid_op 0
		.amdhsa_exception_fp_denorm_src 0
		.amdhsa_exception_fp_ieee_div_zero 0
		.amdhsa_exception_fp_ieee_overflow 0
		.amdhsa_exception_fp_ieee_underflow 0
		.amdhsa_exception_fp_ieee_inexact 0
		.amdhsa_exception_int_div_zero 0
	.end_amdhsa_kernel
	.section	.text._ZN4vllm17activation_kernelIfTnPFT_RKS1_EXadL_ZNS_16gelu_fast_kernelIfEES1_S3_EELb1ELb1EEEvPS1_PS2_i,"axG",@progbits,_ZN4vllm17activation_kernelIfTnPFT_RKS1_EXadL_ZNS_16gelu_fast_kernelIfEES1_S3_EELb1ELb1EEEvPS1_PS2_i,comdat
.Lfunc_end68:
	.size	_ZN4vllm17activation_kernelIfTnPFT_RKS1_EXadL_ZNS_16gelu_fast_kernelIfEES1_S3_EELb1ELb1EEEvPS1_PS2_i, .Lfunc_end68-_ZN4vllm17activation_kernelIfTnPFT_RKS1_EXadL_ZNS_16gelu_fast_kernelIfEES1_S3_EELb1ELb1EEEvPS1_PS2_i
                                        ; -- End function
	.section	.AMDGPU.csdata,"",@progbits
; Kernel info:
; codeLenInByte = 160
; NumSgprs: 40
; NumVgprs: 51
; NumAgprs: 0
; TotalNumVgprs: 51
; ScratchSize: 64
; MemoryBound: 0
; FloatMode: 240
; IeeeMode: 1
; LDSByteSize: 0 bytes/workgroup (compile time only)
; SGPRBlocks: 4
; VGPRBlocks: 6
; NumSGPRsForWavesPerEU: 40
; NumVGPRsForWavesPerEU: 51
; AccumOffset: 52
; Occupancy: 8
; WaveLimiterHint : 1
; COMPUTE_PGM_RSRC2:SCRATCH_EN: 1
; COMPUTE_PGM_RSRC2:USER_SGPR: 8
; COMPUTE_PGM_RSRC2:TRAP_HANDLER: 0
; COMPUTE_PGM_RSRC2:TGID_X_EN: 1
; COMPUTE_PGM_RSRC2:TGID_Y_EN: 0
; COMPUTE_PGM_RSRC2:TGID_Z_EN: 0
; COMPUTE_PGM_RSRC2:TIDIG_COMP_CNT: 0
; COMPUTE_PGM_RSRC3_GFX90A:ACCUM_OFFSET: 12
; COMPUTE_PGM_RSRC3_GFX90A:TG_SPLIT: 0
	.section	.text._ZN4vllm17activation_kernelIN3c104HalfETnPFT_RKS3_EXadL_ZNS_16gelu_fast_kernelIS2_EES3_S5_EELb1ELb1EEEvPS3_PS4_i,"axG",@progbits,_ZN4vllm17activation_kernelIN3c104HalfETnPFT_RKS3_EXadL_ZNS_16gelu_fast_kernelIS2_EES3_S5_EELb1ELb1EEEvPS3_PS4_i,comdat
	.protected	_ZN4vllm17activation_kernelIN3c104HalfETnPFT_RKS3_EXadL_ZNS_16gelu_fast_kernelIS2_EES3_S5_EELb1ELb1EEEvPS3_PS4_i ; -- Begin function _ZN4vllm17activation_kernelIN3c104HalfETnPFT_RKS3_EXadL_ZNS_16gelu_fast_kernelIS2_EES3_S5_EELb1ELb1EEEvPS3_PS4_i
	.globl	_ZN4vllm17activation_kernelIN3c104HalfETnPFT_RKS3_EXadL_ZNS_16gelu_fast_kernelIS2_EES3_S5_EELb1ELb1EEEvPS3_PS4_i
	.p2align	8
	.type	_ZN4vllm17activation_kernelIN3c104HalfETnPFT_RKS3_EXadL_ZNS_16gelu_fast_kernelIS2_EES3_S5_EELb1ELb1EEEvPS3_PS4_i,@function
_ZN4vllm17activation_kernelIN3c104HalfETnPFT_RKS3_EXadL_ZNS_16gelu_fast_kernelIS2_EES3_S5_EELb1ELb1EEEvPS3_PS4_i: ; @_ZN4vllm17activation_kernelIN3c104HalfETnPFT_RKS3_EXadL_ZNS_16gelu_fast_kernelIS2_EES3_S5_EELb1ELb1EEEvPS3_PS4_i
; %bb.0:
	s_add_u32 flat_scratch_lo, s6, s9
	s_load_dword s6, s[4:5], 0x10
	s_addc_u32 flat_scratch_hi, s7, 0
	s_add_u32 s0, s0, s9
	s_addc_u32 s1, s1, 0
	s_mov_b32 s32, 0
	s_waitcnt lgkmcnt(0)
	s_ashr_i32 s7, s6, 31
	s_lshr_b32 s7, s7, 28
	s_add_i32 s6, s6, s7
	s_ashr_i32 s6, s6, 4
	v_cmp_gt_i32_e32 vcc, s6, v0
	s_and_saveexec_b64 s[6:7], vcc
	s_cbranch_execz .LBB69_2
; %bb.1:
	s_add_u32 s8, s4, 24
	s_addc_u32 s9, s5, 0
	s_getpc_b64 s[4:5]
	s_add_u32 s4, s4, .str@rel32@lo+4
	s_addc_u32 s5, s5, .str@rel32@hi+12
	s_getpc_b64 s[6:7]
	s_add_u32 s6, s6, __PRETTY_FUNCTION__._ZN4vllm5ld256ERNS_7u32x8_tEPKS0_@rel32@lo+4
	s_addc_u32 s7, s7, __PRETTY_FUNCTION__._ZN4vllm5ld256ERNS_7u32x8_tEPKS0_@rel32@hi+12
	v_mov_b32_e32 v0, s4
	v_mov_b32_e32 v1, s5
	;; [unrolled: 1-line block ×5, first 2 shown]
	s_getpc_b64 s[10:11]
	s_add_u32 s10, s10, __assert_fail@rel32@lo+4
	s_addc_u32 s11, s11, __assert_fail@rel32@hi+12
	s_swappc_b64 s[30:31], s[10:11]
	; divergent unreachable
.LBB69_2:
	s_endpgm
	.section	.rodata,"a",@progbits
	.p2align	6, 0x0
	.amdhsa_kernel _ZN4vllm17activation_kernelIN3c104HalfETnPFT_RKS3_EXadL_ZNS_16gelu_fast_kernelIS2_EES3_S5_EELb1ELb1EEEvPS3_PS4_i
		.amdhsa_group_segment_fixed_size 0
		.amdhsa_private_segment_fixed_size 64
		.amdhsa_kernarg_size 280
		.amdhsa_user_sgpr_count 8
		.amdhsa_user_sgpr_private_segment_buffer 1
		.amdhsa_user_sgpr_dispatch_ptr 0
		.amdhsa_user_sgpr_queue_ptr 0
		.amdhsa_user_sgpr_kernarg_segment_ptr 1
		.amdhsa_user_sgpr_dispatch_id 0
		.amdhsa_user_sgpr_flat_scratch_init 1
		.amdhsa_user_sgpr_kernarg_preload_length 0
		.amdhsa_user_sgpr_kernarg_preload_offset 0
		.amdhsa_user_sgpr_private_segment_size 0
		.amdhsa_uses_dynamic_stack 0
		.amdhsa_system_sgpr_private_segment_wavefront_offset 1
		.amdhsa_system_sgpr_workgroup_id_x 1
		.amdhsa_system_sgpr_workgroup_id_y 0
		.amdhsa_system_sgpr_workgroup_id_z 0
		.amdhsa_system_sgpr_workgroup_info 0
		.amdhsa_system_vgpr_workitem_id 0
		.amdhsa_next_free_vgpr 51
		.amdhsa_next_free_sgpr 34
		.amdhsa_accum_offset 52
		.amdhsa_reserve_vcc 1
		.amdhsa_reserve_flat_scratch 1
		.amdhsa_float_round_mode_32 0
		.amdhsa_float_round_mode_16_64 0
		.amdhsa_float_denorm_mode_32 3
		.amdhsa_float_denorm_mode_16_64 3
		.amdhsa_dx10_clamp 1
		.amdhsa_ieee_mode 1
		.amdhsa_fp16_overflow 0
		.amdhsa_tg_split 0
		.amdhsa_exception_fp_ieee_invalid_op 0
		.amdhsa_exception_fp_denorm_src 0
		.amdhsa_exception_fp_ieee_div_zero 0
		.amdhsa_exception_fp_ieee_overflow 0
		.amdhsa_exception_fp_ieee_underflow 0
		.amdhsa_exception_fp_ieee_inexact 0
		.amdhsa_exception_int_div_zero 0
	.end_amdhsa_kernel
	.section	.text._ZN4vllm17activation_kernelIN3c104HalfETnPFT_RKS3_EXadL_ZNS_16gelu_fast_kernelIS2_EES3_S5_EELb1ELb1EEEvPS3_PS4_i,"axG",@progbits,_ZN4vllm17activation_kernelIN3c104HalfETnPFT_RKS3_EXadL_ZNS_16gelu_fast_kernelIS2_EES3_S5_EELb1ELb1EEEvPS3_PS4_i,comdat
.Lfunc_end69:
	.size	_ZN4vllm17activation_kernelIN3c104HalfETnPFT_RKS3_EXadL_ZNS_16gelu_fast_kernelIS2_EES3_S5_EELb1ELb1EEEvPS3_PS4_i, .Lfunc_end69-_ZN4vllm17activation_kernelIN3c104HalfETnPFT_RKS3_EXadL_ZNS_16gelu_fast_kernelIS2_EES3_S5_EELb1ELb1EEEvPS3_PS4_i
                                        ; -- End function
	.section	.AMDGPU.csdata,"",@progbits
; Kernel info:
; codeLenInByte = 160
; NumSgprs: 40
; NumVgprs: 51
; NumAgprs: 0
; TotalNumVgprs: 51
; ScratchSize: 64
; MemoryBound: 0
; FloatMode: 240
; IeeeMode: 1
; LDSByteSize: 0 bytes/workgroup (compile time only)
; SGPRBlocks: 4
; VGPRBlocks: 6
; NumSGPRsForWavesPerEU: 40
; NumVGPRsForWavesPerEU: 51
; AccumOffset: 52
; Occupancy: 8
; WaveLimiterHint : 1
; COMPUTE_PGM_RSRC2:SCRATCH_EN: 1
; COMPUTE_PGM_RSRC2:USER_SGPR: 8
; COMPUTE_PGM_RSRC2:TRAP_HANDLER: 0
; COMPUTE_PGM_RSRC2:TGID_X_EN: 1
; COMPUTE_PGM_RSRC2:TGID_Y_EN: 0
; COMPUTE_PGM_RSRC2:TGID_Z_EN: 0
; COMPUTE_PGM_RSRC2:TIDIG_COMP_CNT: 0
; COMPUTE_PGM_RSRC3_GFX90A:ACCUM_OFFSET: 12
; COMPUTE_PGM_RSRC3_GFX90A:TG_SPLIT: 0
	.section	.text._ZN4vllm17activation_kernelIN3c108BFloat16ETnPFT_RKS3_EXadL_ZNS_16gelu_fast_kernelIS2_EES3_S5_EELb1ELb1EEEvPS3_PS4_i,"axG",@progbits,_ZN4vllm17activation_kernelIN3c108BFloat16ETnPFT_RKS3_EXadL_ZNS_16gelu_fast_kernelIS2_EES3_S5_EELb1ELb1EEEvPS3_PS4_i,comdat
	.protected	_ZN4vllm17activation_kernelIN3c108BFloat16ETnPFT_RKS3_EXadL_ZNS_16gelu_fast_kernelIS2_EES3_S5_EELb1ELb1EEEvPS3_PS4_i ; -- Begin function _ZN4vllm17activation_kernelIN3c108BFloat16ETnPFT_RKS3_EXadL_ZNS_16gelu_fast_kernelIS2_EES3_S5_EELb1ELb1EEEvPS3_PS4_i
	.globl	_ZN4vllm17activation_kernelIN3c108BFloat16ETnPFT_RKS3_EXadL_ZNS_16gelu_fast_kernelIS2_EES3_S5_EELb1ELb1EEEvPS3_PS4_i
	.p2align	8
	.type	_ZN4vllm17activation_kernelIN3c108BFloat16ETnPFT_RKS3_EXadL_ZNS_16gelu_fast_kernelIS2_EES3_S5_EELb1ELb1EEEvPS3_PS4_i,@function
_ZN4vllm17activation_kernelIN3c108BFloat16ETnPFT_RKS3_EXadL_ZNS_16gelu_fast_kernelIS2_EES3_S5_EELb1ELb1EEEvPS3_PS4_i: ; @_ZN4vllm17activation_kernelIN3c108BFloat16ETnPFT_RKS3_EXadL_ZNS_16gelu_fast_kernelIS2_EES3_S5_EELb1ELb1EEEvPS3_PS4_i
; %bb.0:
	s_add_u32 flat_scratch_lo, s6, s9
	s_load_dword s6, s[4:5], 0x10
	s_addc_u32 flat_scratch_hi, s7, 0
	s_add_u32 s0, s0, s9
	s_addc_u32 s1, s1, 0
	s_mov_b32 s32, 0
	s_waitcnt lgkmcnt(0)
	s_ashr_i32 s7, s6, 31
	s_lshr_b32 s7, s7, 28
	s_add_i32 s6, s6, s7
	s_ashr_i32 s6, s6, 4
	v_cmp_gt_i32_e32 vcc, s6, v0
	s_and_saveexec_b64 s[6:7], vcc
	s_cbranch_execz .LBB70_2
; %bb.1:
	s_add_u32 s8, s4, 24
	s_addc_u32 s9, s5, 0
	s_getpc_b64 s[4:5]
	s_add_u32 s4, s4, .str@rel32@lo+4
	s_addc_u32 s5, s5, .str@rel32@hi+12
	s_getpc_b64 s[6:7]
	s_add_u32 s6, s6, __PRETTY_FUNCTION__._ZN4vllm5ld256ERNS_7u32x8_tEPKS0_@rel32@lo+4
	s_addc_u32 s7, s7, __PRETTY_FUNCTION__._ZN4vllm5ld256ERNS_7u32x8_tEPKS0_@rel32@hi+12
	v_mov_b32_e32 v0, s4
	v_mov_b32_e32 v1, s5
	;; [unrolled: 1-line block ×5, first 2 shown]
	s_getpc_b64 s[10:11]
	s_add_u32 s10, s10, __assert_fail@rel32@lo+4
	s_addc_u32 s11, s11, __assert_fail@rel32@hi+12
	s_swappc_b64 s[30:31], s[10:11]
	; divergent unreachable
.LBB70_2:
	s_endpgm
	.section	.rodata,"a",@progbits
	.p2align	6, 0x0
	.amdhsa_kernel _ZN4vllm17activation_kernelIN3c108BFloat16ETnPFT_RKS3_EXadL_ZNS_16gelu_fast_kernelIS2_EES3_S5_EELb1ELb1EEEvPS3_PS4_i
		.amdhsa_group_segment_fixed_size 0
		.amdhsa_private_segment_fixed_size 64
		.amdhsa_kernarg_size 280
		.amdhsa_user_sgpr_count 8
		.amdhsa_user_sgpr_private_segment_buffer 1
		.amdhsa_user_sgpr_dispatch_ptr 0
		.amdhsa_user_sgpr_queue_ptr 0
		.amdhsa_user_sgpr_kernarg_segment_ptr 1
		.amdhsa_user_sgpr_dispatch_id 0
		.amdhsa_user_sgpr_flat_scratch_init 1
		.amdhsa_user_sgpr_kernarg_preload_length 0
		.amdhsa_user_sgpr_kernarg_preload_offset 0
		.amdhsa_user_sgpr_private_segment_size 0
		.amdhsa_uses_dynamic_stack 0
		.amdhsa_system_sgpr_private_segment_wavefront_offset 1
		.amdhsa_system_sgpr_workgroup_id_x 1
		.amdhsa_system_sgpr_workgroup_id_y 0
		.amdhsa_system_sgpr_workgroup_id_z 0
		.amdhsa_system_sgpr_workgroup_info 0
		.amdhsa_system_vgpr_workitem_id 0
		.amdhsa_next_free_vgpr 51
		.amdhsa_next_free_sgpr 34
		.amdhsa_accum_offset 52
		.amdhsa_reserve_vcc 1
		.amdhsa_reserve_flat_scratch 1
		.amdhsa_float_round_mode_32 0
		.amdhsa_float_round_mode_16_64 0
		.amdhsa_float_denorm_mode_32 3
		.amdhsa_float_denorm_mode_16_64 3
		.amdhsa_dx10_clamp 1
		.amdhsa_ieee_mode 1
		.amdhsa_fp16_overflow 0
		.amdhsa_tg_split 0
		.amdhsa_exception_fp_ieee_invalid_op 0
		.amdhsa_exception_fp_denorm_src 0
		.amdhsa_exception_fp_ieee_div_zero 0
		.amdhsa_exception_fp_ieee_overflow 0
		.amdhsa_exception_fp_ieee_underflow 0
		.amdhsa_exception_fp_ieee_inexact 0
		.amdhsa_exception_int_div_zero 0
	.end_amdhsa_kernel
	.section	.text._ZN4vllm17activation_kernelIN3c108BFloat16ETnPFT_RKS3_EXadL_ZNS_16gelu_fast_kernelIS2_EES3_S5_EELb1ELb1EEEvPS3_PS4_i,"axG",@progbits,_ZN4vllm17activation_kernelIN3c108BFloat16ETnPFT_RKS3_EXadL_ZNS_16gelu_fast_kernelIS2_EES3_S5_EELb1ELb1EEEvPS3_PS4_i,comdat
.Lfunc_end70:
	.size	_ZN4vllm17activation_kernelIN3c108BFloat16ETnPFT_RKS3_EXadL_ZNS_16gelu_fast_kernelIS2_EES3_S5_EELb1ELb1EEEvPS3_PS4_i, .Lfunc_end70-_ZN4vllm17activation_kernelIN3c108BFloat16ETnPFT_RKS3_EXadL_ZNS_16gelu_fast_kernelIS2_EES3_S5_EELb1ELb1EEEvPS3_PS4_i
                                        ; -- End function
	.section	.AMDGPU.csdata,"",@progbits
; Kernel info:
; codeLenInByte = 160
; NumSgprs: 40
; NumVgprs: 51
; NumAgprs: 0
; TotalNumVgprs: 51
; ScratchSize: 64
; MemoryBound: 0
; FloatMode: 240
; IeeeMode: 1
; LDSByteSize: 0 bytes/workgroup (compile time only)
; SGPRBlocks: 4
; VGPRBlocks: 6
; NumSGPRsForWavesPerEU: 40
; NumVGPRsForWavesPerEU: 51
; AccumOffset: 52
; Occupancy: 8
; WaveLimiterHint : 1
; COMPUTE_PGM_RSRC2:SCRATCH_EN: 1
; COMPUTE_PGM_RSRC2:USER_SGPR: 8
; COMPUTE_PGM_RSRC2:TRAP_HANDLER: 0
; COMPUTE_PGM_RSRC2:TGID_X_EN: 1
; COMPUTE_PGM_RSRC2:TGID_Y_EN: 0
; COMPUTE_PGM_RSRC2:TGID_Z_EN: 0
; COMPUTE_PGM_RSRC2:TIDIG_COMP_CNT: 0
; COMPUTE_PGM_RSRC3_GFX90A:ACCUM_OFFSET: 12
; COMPUTE_PGM_RSRC3_GFX90A:TG_SPLIT: 0
	.section	.text._ZN4vllm17activation_kernelIfTnPFT_RKS1_EXadL_ZNS_16gelu_fast_kernelIfEES1_S3_EELb1ELb0EEEvPS1_PS2_i,"axG",@progbits,_ZN4vllm17activation_kernelIfTnPFT_RKS1_EXadL_ZNS_16gelu_fast_kernelIfEES1_S3_EELb1ELb0EEEvPS1_PS2_i,comdat
	.protected	_ZN4vllm17activation_kernelIfTnPFT_RKS1_EXadL_ZNS_16gelu_fast_kernelIfEES1_S3_EELb1ELb0EEEvPS1_PS2_i ; -- Begin function _ZN4vllm17activation_kernelIfTnPFT_RKS1_EXadL_ZNS_16gelu_fast_kernelIfEES1_S3_EELb1ELb0EEEvPS1_PS2_i
	.globl	_ZN4vllm17activation_kernelIfTnPFT_RKS1_EXadL_ZNS_16gelu_fast_kernelIfEES1_S3_EELb1ELb0EEEvPS1_PS2_i
	.p2align	8
	.type	_ZN4vllm17activation_kernelIfTnPFT_RKS1_EXadL_ZNS_16gelu_fast_kernelIfEES1_S3_EELb1ELb0EEEvPS1_PS2_i,@function
_ZN4vllm17activation_kernelIfTnPFT_RKS1_EXadL_ZNS_16gelu_fast_kernelIfEES1_S3_EELb1ELb0EEEvPS1_PS2_i: ; @_ZN4vllm17activation_kernelIfTnPFT_RKS1_EXadL_ZNS_16gelu_fast_kernelIfEES1_S3_EELb1ELb0EEEvPS1_PS2_i
; %bb.0:
	s_load_dword s7, s[4:5], 0x10
	s_waitcnt lgkmcnt(0)
	s_ashr_i32 s0, s7, 31
	s_lshr_b32 s0, s0, 30
	s_add_i32 s0, s7, s0
	s_ashr_i32 s8, s0, 2
	v_cmp_gt_i32_e32 vcc, s8, v0
	s_and_saveexec_b64 s[0:1], vcc
	s_cbranch_execz .LBB71_19
; %bb.1:
	s_load_dword s9, s[4:5], 0x24
	s_load_dwordx4 s[0:3], s[4:5], 0x0
	s_mul_i32 s6, s6, s7
	s_mov_b32 s7, 0
	v_lshlrev_b32_e32 v1, 4, v0
	s_lshl_b64 s[4:5], s[6:7], 2
	s_waitcnt lgkmcnt(0)
	s_and_b32 s9, s9, 0xffff
	v_mov_b32_e32 v2, s5
	v_add_co_u32_e32 v6, vcc, s4, v1
	v_addc_co_u32_e32 v1, vcc, 0, v2, vcc
	s_lshl_b32 s10, s9, 4
	s_mov_b64 s[4:5], 0
	v_mov_b32_e32 v7, s3
	s_mov_b32 s3, 0x3f200000
	s_mov_b32 s11, 0x3fb8aa3b
	;; [unrolled: 1-line block ×4, first 2 shown]
	v_mov_b32_e32 v8, 0xbd5c1c4e
	v_mov_b32_e32 v9, 0x3e088382
	v_mov_b32_e32 v10, 0xbeaaaa99
	s_brev_b32 s14, -2
	v_mov_b32_e32 v11, s1
	v_mov_b32_e32 v12, s7
	;; [unrolled: 1-line block ×3, first 2 shown]
	s_branch .LBB71_3
.LBB71_2:                               ;   in Loop: Header=BB71_3 Depth=1
	s_or_b64 exec, exec, s[6:7]
	v_bfi_b32 v14, s14, v15, v14
	v_mul_f32_e32 v2, 0.5, v2
	v_add_f32_e32 v14, 1.0, v14
	v_mul_f32_e32 v2, v2, v14
	v_bfi_b32 v14, s14, v21, v20
	v_mul_f32_e32 v5, 0.5, v5
	v_add_f32_e32 v14, 1.0, v14
	v_mul_f32_e32 v5, v5, v14
	v_add_co_u32_e32 v14, vcc, s0, v6
	v_addc_co_u32_e32 v15, vcc, v11, v1, vcc
	v_add_u32_e32 v0, s9, v0
	v_bfi_b32 v18, s14, v19, v18
	v_bfi_b32 v16, s14, v17, v16
	v_cmp_le_i32_e32 vcc, s8, v0
	v_mul_f32_e32 v4, 0.5, v4
	v_add_f32_e32 v18, 1.0, v18
	v_mul_f32_e32 v3, 0.5, v3
	v_add_f32_e32 v16, 1.0, v16
	s_or_b64 s[4:5], vcc, s[4:5]
	v_add_co_u32_e32 v6, vcc, s10, v6
	v_mul_f32_e32 v4, v4, v18
	v_mul_f32_e32 v3, v3, v16
	v_addc_co_u32_e32 v1, vcc, v1, v12, vcc
	global_store_dwordx4 v[14:15], v[2:5], off
	s_andn2_b64 exec, exec, s[4:5]
	s_cbranch_execz .LBB71_19
.LBB71_3:                               ; =>This Inner Loop Header: Depth=1
	v_add_co_u32_e32 v2, vcc, s2, v6
	v_addc_co_u32_e32 v3, vcc, v7, v1, vcc
	global_load_dwordx4 v[2:5], v[2:3], off
	s_waitcnt vmcnt(0)
	v_mul_f32_e32 v15, 0x3d372713, v2
	v_mul_f32_e32 v14, 0x3f4c422a, v2
	v_fma_f32 v15, v2, v15, 1.0
	v_mul_f32_e32 v14, v14, v15
	v_cmp_nlt_f32_e64 s[6:7], |v14|, s3
                                        ; implicit-def: $vgpr15
	s_and_saveexec_b64 s[16:17], s[6:7]
	s_xor_b64 s[6:7], exec, s[16:17]
	s_cbranch_execz .LBB71_5
; %bb.4:                                ;   in Loop: Header=BB71_3 Depth=1
	v_add_f32_e64 v15, |v14|, |v14|
	v_mul_f32_e32 v16, 0x3fb8aa3b, v15
	v_rndne_f32_e32 v17, v16
	v_sub_f32_e32 v18, v16, v17
	v_fma_f32 v16, v15, s11, -v16
	v_fmac_f32_e32 v16, 0x32a5705f, v15
	v_add_f32_e32 v16, v18, v16
	v_cvt_i32_f32_e32 v17, v17
	v_exp_f32_e32 v16, v16
	v_cmp_ngt_f32_e32 vcc, s12, v15
	v_ldexp_f32 v16, v16, v17
	v_cndmask_b32_e32 v16, 0, v16, vcc
	v_cmp_nlt_f32_e32 vcc, s13, v15
	v_cndmask_b32_e32 v15, v13, v16, vcc
	v_add_f32_e32 v15, 1.0, v15
	v_rcp_f32_e32 v15, v15
	v_fma_f32 v15, v15, -2.0, 1.0
.LBB71_5:                               ;   in Loop: Header=BB71_3 Depth=1
	s_andn2_saveexec_b64 s[6:7], s[6:7]
; %bb.6:                                ;   in Loop: Header=BB71_3 Depth=1
	v_mul_f32_e32 v15, v14, v14
	v_mov_b32_e32 v16, 0x3ca908c9
	v_fmac_f32_e32 v16, 0xbbbac73d, v15
	v_fma_f32 v16, v15, v16, v8
	v_fma_f32 v16, v15, v16, v9
	v_fma_f32 v16, v15, v16, v10
	v_mul_f32_e64 v16, |v14|, v16
	v_fma_f32 v15, v15, v16, |v14|
; %bb.7:                                ;   in Loop: Header=BB71_3 Depth=1
	s_or_b64 exec, exec, s[6:7]
	v_mul_f32_e32 v17, 0x3d372713, v3
	v_mul_f32_e32 v16, 0x3f4c422a, v3
	v_fma_f32 v17, v3, v17, 1.0
	v_mul_f32_e32 v16, v16, v17
	v_cmp_nlt_f32_e64 s[6:7], |v16|, s3
                                        ; implicit-def: $vgpr17
	s_and_saveexec_b64 s[16:17], s[6:7]
	s_xor_b64 s[6:7], exec, s[16:17]
	s_cbranch_execz .LBB71_9
; %bb.8:                                ;   in Loop: Header=BB71_3 Depth=1
	v_add_f32_e64 v17, |v16|, |v16|
	v_mul_f32_e32 v18, 0x3fb8aa3b, v17
	v_rndne_f32_e32 v19, v18
	v_sub_f32_e32 v20, v18, v19
	v_fma_f32 v18, v17, s11, -v18
	v_fmac_f32_e32 v18, 0x32a5705f, v17
	v_add_f32_e32 v18, v20, v18
	v_cvt_i32_f32_e32 v19, v19
	v_exp_f32_e32 v18, v18
	v_cmp_ngt_f32_e32 vcc, s12, v17
	v_ldexp_f32 v18, v18, v19
	v_cndmask_b32_e32 v18, 0, v18, vcc
	v_cmp_nlt_f32_e32 vcc, s13, v17
	v_cndmask_b32_e32 v17, v13, v18, vcc
	v_add_f32_e32 v17, 1.0, v17
	v_rcp_f32_e32 v17, v17
	v_fma_f32 v17, v17, -2.0, 1.0
.LBB71_9:                               ;   in Loop: Header=BB71_3 Depth=1
	s_andn2_saveexec_b64 s[6:7], s[6:7]
; %bb.10:                               ;   in Loop: Header=BB71_3 Depth=1
	v_mul_f32_e32 v17, v16, v16
	v_mov_b32_e32 v18, 0x3ca908c9
	v_fmac_f32_e32 v18, 0xbbbac73d, v17
	v_fma_f32 v18, v17, v18, v8
	v_fma_f32 v18, v17, v18, v9
	;; [unrolled: 1-line block ×3, first 2 shown]
	v_mul_f32_e64 v18, |v16|, v18
	v_fma_f32 v17, v17, v18, |v16|
; %bb.11:                               ;   in Loop: Header=BB71_3 Depth=1
	s_or_b64 exec, exec, s[6:7]
	v_mul_f32_e32 v19, 0x3d372713, v4
	v_mul_f32_e32 v18, 0x3f4c422a, v4
	v_fma_f32 v19, v4, v19, 1.0
	v_mul_f32_e32 v18, v18, v19
	v_cmp_nlt_f32_e64 s[6:7], |v18|, s3
                                        ; implicit-def: $vgpr19
	s_and_saveexec_b64 s[16:17], s[6:7]
	s_xor_b64 s[6:7], exec, s[16:17]
	s_cbranch_execz .LBB71_13
; %bb.12:                               ;   in Loop: Header=BB71_3 Depth=1
	v_add_f32_e64 v19, |v18|, |v18|
	v_mul_f32_e32 v20, 0x3fb8aa3b, v19
	v_rndne_f32_e32 v21, v20
	v_sub_f32_e32 v22, v20, v21
	v_fma_f32 v20, v19, s11, -v20
	v_fmac_f32_e32 v20, 0x32a5705f, v19
	v_add_f32_e32 v20, v22, v20
	v_cvt_i32_f32_e32 v21, v21
	v_exp_f32_e32 v20, v20
	v_cmp_ngt_f32_e32 vcc, s12, v19
	v_ldexp_f32 v20, v20, v21
	v_cndmask_b32_e32 v20, 0, v20, vcc
	v_cmp_nlt_f32_e32 vcc, s13, v19
	v_cndmask_b32_e32 v19, v13, v20, vcc
	v_add_f32_e32 v19, 1.0, v19
	v_rcp_f32_e32 v19, v19
	v_fma_f32 v19, v19, -2.0, 1.0
.LBB71_13:                              ;   in Loop: Header=BB71_3 Depth=1
	s_andn2_saveexec_b64 s[6:7], s[6:7]
; %bb.14:                               ;   in Loop: Header=BB71_3 Depth=1
	v_mul_f32_e32 v19, v18, v18
	v_mov_b32_e32 v20, 0x3ca908c9
	v_fmac_f32_e32 v20, 0xbbbac73d, v19
	v_fma_f32 v20, v19, v20, v8
	v_fma_f32 v20, v19, v20, v9
	;; [unrolled: 1-line block ×3, first 2 shown]
	v_mul_f32_e64 v20, |v18|, v20
	v_fma_f32 v19, v19, v20, |v18|
; %bb.15:                               ;   in Loop: Header=BB71_3 Depth=1
	s_or_b64 exec, exec, s[6:7]
	v_mul_f32_e32 v21, 0x3d372713, v5
	v_mul_f32_e32 v20, 0x3f4c422a, v5
	v_fma_f32 v21, v5, v21, 1.0
	v_mul_f32_e32 v20, v20, v21
	v_cmp_nlt_f32_e64 s[6:7], |v20|, s3
                                        ; implicit-def: $vgpr21
	s_and_saveexec_b64 s[16:17], s[6:7]
	s_xor_b64 s[6:7], exec, s[16:17]
	s_cbranch_execz .LBB71_17
; %bb.16:                               ;   in Loop: Header=BB71_3 Depth=1
	v_add_f32_e64 v21, |v20|, |v20|
	v_mul_f32_e32 v22, 0x3fb8aa3b, v21
	v_rndne_f32_e32 v23, v22
	v_sub_f32_e32 v24, v22, v23
	v_fma_f32 v22, v21, s11, -v22
	v_fmac_f32_e32 v22, 0x32a5705f, v21
	v_add_f32_e32 v22, v24, v22
	v_cvt_i32_f32_e32 v23, v23
	v_exp_f32_e32 v22, v22
	v_cmp_ngt_f32_e32 vcc, s12, v21
	v_ldexp_f32 v22, v22, v23
	v_cndmask_b32_e32 v22, 0, v22, vcc
	v_cmp_nlt_f32_e32 vcc, s13, v21
	v_cndmask_b32_e32 v21, v13, v22, vcc
	v_add_f32_e32 v21, 1.0, v21
	v_rcp_f32_e32 v21, v21
	v_fma_f32 v21, v21, -2.0, 1.0
.LBB71_17:                              ;   in Loop: Header=BB71_3 Depth=1
	s_andn2_saveexec_b64 s[6:7], s[6:7]
	s_cbranch_execz .LBB71_2
; %bb.18:                               ;   in Loop: Header=BB71_3 Depth=1
	v_mul_f32_e32 v21, v20, v20
	v_mov_b32_e32 v22, 0x3ca908c9
	v_fmac_f32_e32 v22, 0xbbbac73d, v21
	v_fma_f32 v22, v21, v22, v8
	v_fma_f32 v22, v21, v22, v9
	;; [unrolled: 1-line block ×3, first 2 shown]
	v_mul_f32_e64 v22, |v20|, v22
	v_fma_f32 v21, v21, v22, |v20|
	s_branch .LBB71_2
.LBB71_19:
	s_endpgm
	.section	.rodata,"a",@progbits
	.p2align	6, 0x0
	.amdhsa_kernel _ZN4vllm17activation_kernelIfTnPFT_RKS1_EXadL_ZNS_16gelu_fast_kernelIfEES1_S3_EELb1ELb0EEEvPS1_PS2_i
		.amdhsa_group_segment_fixed_size 0
		.amdhsa_private_segment_fixed_size 0
		.amdhsa_kernarg_size 280
		.amdhsa_user_sgpr_count 6
		.amdhsa_user_sgpr_private_segment_buffer 1
		.amdhsa_user_sgpr_dispatch_ptr 0
		.amdhsa_user_sgpr_queue_ptr 0
		.amdhsa_user_sgpr_kernarg_segment_ptr 1
		.amdhsa_user_sgpr_dispatch_id 0
		.amdhsa_user_sgpr_flat_scratch_init 0
		.amdhsa_user_sgpr_kernarg_preload_length 0
		.amdhsa_user_sgpr_kernarg_preload_offset 0
		.amdhsa_user_sgpr_private_segment_size 0
		.amdhsa_uses_dynamic_stack 0
		.amdhsa_system_sgpr_private_segment_wavefront_offset 0
		.amdhsa_system_sgpr_workgroup_id_x 1
		.amdhsa_system_sgpr_workgroup_id_y 0
		.amdhsa_system_sgpr_workgroup_id_z 0
		.amdhsa_system_sgpr_workgroup_info 0
		.amdhsa_system_vgpr_workitem_id 0
		.amdhsa_next_free_vgpr 25
		.amdhsa_next_free_sgpr 18
		.amdhsa_accum_offset 28
		.amdhsa_reserve_vcc 1
		.amdhsa_reserve_flat_scratch 0
		.amdhsa_float_round_mode_32 0
		.amdhsa_float_round_mode_16_64 0
		.amdhsa_float_denorm_mode_32 3
		.amdhsa_float_denorm_mode_16_64 3
		.amdhsa_dx10_clamp 1
		.amdhsa_ieee_mode 1
		.amdhsa_fp16_overflow 0
		.amdhsa_tg_split 0
		.amdhsa_exception_fp_ieee_invalid_op 0
		.amdhsa_exception_fp_denorm_src 0
		.amdhsa_exception_fp_ieee_div_zero 0
		.amdhsa_exception_fp_ieee_overflow 0
		.amdhsa_exception_fp_ieee_underflow 0
		.amdhsa_exception_fp_ieee_inexact 0
		.amdhsa_exception_int_div_zero 0
	.end_amdhsa_kernel
	.section	.text._ZN4vllm17activation_kernelIfTnPFT_RKS1_EXadL_ZNS_16gelu_fast_kernelIfEES1_S3_EELb1ELb0EEEvPS1_PS2_i,"axG",@progbits,_ZN4vllm17activation_kernelIfTnPFT_RKS1_EXadL_ZNS_16gelu_fast_kernelIfEES1_S3_EELb1ELb0EEEvPS1_PS2_i,comdat
.Lfunc_end71:
	.size	_ZN4vllm17activation_kernelIfTnPFT_RKS1_EXadL_ZNS_16gelu_fast_kernelIfEES1_S3_EELb1ELb0EEEvPS1_PS2_i, .Lfunc_end71-_ZN4vllm17activation_kernelIfTnPFT_RKS1_EXadL_ZNS_16gelu_fast_kernelIfEES1_S3_EELb1ELb0EEEvPS1_PS2_i
                                        ; -- End function
	.section	.AMDGPU.csdata,"",@progbits
; Kernel info:
; codeLenInByte = 1176
; NumSgprs: 22
; NumVgprs: 25
; NumAgprs: 0
; TotalNumVgprs: 25
; ScratchSize: 0
; MemoryBound: 0
; FloatMode: 240
; IeeeMode: 1
; LDSByteSize: 0 bytes/workgroup (compile time only)
; SGPRBlocks: 2
; VGPRBlocks: 3
; NumSGPRsForWavesPerEU: 22
; NumVGPRsForWavesPerEU: 25
; AccumOffset: 28
; Occupancy: 8
; WaveLimiterHint : 0
; COMPUTE_PGM_RSRC2:SCRATCH_EN: 0
; COMPUTE_PGM_RSRC2:USER_SGPR: 6
; COMPUTE_PGM_RSRC2:TRAP_HANDLER: 0
; COMPUTE_PGM_RSRC2:TGID_X_EN: 1
; COMPUTE_PGM_RSRC2:TGID_Y_EN: 0
; COMPUTE_PGM_RSRC2:TGID_Z_EN: 0
; COMPUTE_PGM_RSRC2:TIDIG_COMP_CNT: 0
; COMPUTE_PGM_RSRC3_GFX90A:ACCUM_OFFSET: 6
; COMPUTE_PGM_RSRC3_GFX90A:TG_SPLIT: 0
	.section	.text._ZN4vllm17activation_kernelIN3c104HalfETnPFT_RKS3_EXadL_ZNS_16gelu_fast_kernelIS2_EES3_S5_EELb1ELb0EEEvPS3_PS4_i,"axG",@progbits,_ZN4vllm17activation_kernelIN3c104HalfETnPFT_RKS3_EXadL_ZNS_16gelu_fast_kernelIS2_EES3_S5_EELb1ELb0EEEvPS3_PS4_i,comdat
	.protected	_ZN4vllm17activation_kernelIN3c104HalfETnPFT_RKS3_EXadL_ZNS_16gelu_fast_kernelIS2_EES3_S5_EELb1ELb0EEEvPS3_PS4_i ; -- Begin function _ZN4vllm17activation_kernelIN3c104HalfETnPFT_RKS3_EXadL_ZNS_16gelu_fast_kernelIS2_EES3_S5_EELb1ELb0EEEvPS3_PS4_i
	.globl	_ZN4vllm17activation_kernelIN3c104HalfETnPFT_RKS3_EXadL_ZNS_16gelu_fast_kernelIS2_EES3_S5_EELb1ELb0EEEvPS3_PS4_i
	.p2align	8
	.type	_ZN4vllm17activation_kernelIN3c104HalfETnPFT_RKS3_EXadL_ZNS_16gelu_fast_kernelIS2_EES3_S5_EELb1ELb0EEEvPS3_PS4_i,@function
_ZN4vllm17activation_kernelIN3c104HalfETnPFT_RKS3_EXadL_ZNS_16gelu_fast_kernelIS2_EES3_S5_EELb1ELb0EEEvPS3_PS4_i: ; @_ZN4vllm17activation_kernelIN3c104HalfETnPFT_RKS3_EXadL_ZNS_16gelu_fast_kernelIS2_EES3_S5_EELb1ELb0EEEvPS3_PS4_i
; %bb.0:
	s_load_dword s0, s[4:5], 0x10
	s_waitcnt lgkmcnt(0)
	s_ashr_i32 s1, s0, 31
	s_lshr_b32 s1, s1, 29
	s_add_i32 s1, s0, s1
	s_ashr_i32 s8, s1, 3
	v_cmp_gt_i32_e32 vcc, s8, v0
	s_and_saveexec_b64 s[2:3], vcc
	s_cbranch_execz .LBB72_35
; %bb.1:
	s_load_dword s7, s[4:5], 0x24
	s_load_dwordx4 s[12:15], s[4:5], 0x0
	v_lshlrev_b32_e32 v2, 4, v0
	s_mul_i32 s0, s6, s0
	s_mov_b32 s1, 0
	s_lshl_b64 s[2:3], s[0:1], 1
	s_waitcnt lgkmcnt(0)
	v_mov_b32_e32 v1, s13
	v_add_co_u32_e32 v6, vcc, s12, v2
	v_addc_co_u32_e32 v1, vcc, 0, v1, vcc
	s_and_b32 s0, s7, 0xffff
	v_mov_b32_e32 v3, s15
	v_add_co_u32_e32 v8, vcc, s14, v2
	s_lshl_b32 s9, s0, 4
	v_addc_co_u32_e32 v7, vcc, 0, v3, vcc
	s_mov_b64 s[4:5], 0
	v_mov_b32_e32 v9, s3
	s_mov_b32 s10, 0x3f4c422a
	s_mov_b32 s11, 0x3d372713
	;; [unrolled: 1-line block ×6, first 2 shown]
	v_mov_b32_e32 v10, 0xbd5c1c4e
	v_mov_b32_e32 v11, 0x3e088382
	;; [unrolled: 1-line block ×3, first 2 shown]
	s_movk_i32 s16, 0x7fff
	v_mov_b32_e32 v13, 0x7f800000
	s_branch .LBB72_3
.LBB72_2:                               ;   in Loop: Header=BB72_3 Depth=1
	s_or_b64 exec, exec, s[6:7]
	v_cvt_f16_f32_e32 v15, v15
	v_lshrrev_b32_e32 v14, 16, v14
	v_cvt_f16_f32_e32 v32, v32
	v_cvt_f16_f32_e32 v28, v28
	;; [unrolled: 1-line block ×6, first 2 shown]
	v_bfi_b32 v14, s16, v15, v14
	v_cvt_f16_f32_e32 v15, v33
	v_mul_f16_e32 v2, 0.5, v2
	v_add_f16_e32 v14, 1.0, v14
	v_lshrrev_b32_e32 v31, 16, v31
	v_lshrrev_b32_e32 v27, 16, v27
	;; [unrolled: 1-line block ×6, first 2 shown]
	v_mul_f16_e32 v2, v2, v14
	v_lshrrev_b32_e32 v14, 16, v30
	v_bfi_b32 v31, s16, v32, v31
	v_bfi_b32 v27, s16, v28, v27
	;; [unrolled: 1-line block ×7, first 2 shown]
	v_mul_f16_e32 v5, 0.5, v5
	v_add_f16_e32 v31, 1.0, v31
	v_mul_f16_e32 v26, 0.5, v26
	v_add_f16_e32 v27, 1.0, v27
	;; [unrolled: 2-line block ×7, first 2 shown]
	v_mul_f16_e32 v5, v5, v31
	v_mul_f16_e32 v26, v26, v27
	;; [unrolled: 1-line block ×7, first 2 shown]
	v_mov_b32_e32 v15, s3
	v_add_co_u32_e32 v14, vcc, s2, v6
	v_addc_co_u32_e32 v15, vcc, v1, v15, vcc
	v_pack_b32_f16 v5, v5, v17
	v_pack_b32_f16 v4, v4, v26
	;; [unrolled: 1-line block ×4, first 2 shown]
	global_store_dwordx4 v[14:15], v[2:5], off
	v_add_co_u32_e32 v6, vcc, s9, v6
	v_mov_b32_e32 v2, s1
	v_add_u32_e32 v0, s0, v0
	v_addc_co_u32_e32 v1, vcc, v1, v2, vcc
	v_cmp_le_i32_e32 vcc, s8, v0
	s_or_b64 s[4:5], vcc, s[4:5]
	v_add_co_u32_e32 v8, vcc, s9, v8
	v_addc_co_u32_e32 v7, vcc, v7, v2, vcc
	s_andn2_b64 exec, exec, s[4:5]
	s_cbranch_execz .LBB72_35
.LBB72_3:                               ; =>This Inner Loop Header: Depth=1
	v_add_co_u32_e32 v2, vcc, s2, v8
	v_addc_co_u32_e32 v3, vcc, v7, v9, vcc
	global_load_dwordx4 v[2:5], v[2:3], off
	s_waitcnt vmcnt(0)
	v_fma_mixlo_f16 v15, v2, s11, 0 op_sel_hi:[1,0,0]
	v_fma_mixlo_f16 v14, v2, s10, 0 op_sel_hi:[1,0,0]
	v_fma_f16 v15, v2, v15, 1.0
	v_mul_f16_e32 v14, v15, v14
	v_cvt_f32_f16_e32 v14, v14
                                        ; implicit-def: $vgpr15
	v_cmp_nlt_f32_e64 s[6:7], |v14|, s12
	s_and_saveexec_b64 s[18:19], s[6:7]
	s_xor_b64 s[6:7], exec, s[18:19]
	s_cbranch_execz .LBB72_5
; %bb.4:                                ;   in Loop: Header=BB72_3 Depth=1
	v_add_f32_e64 v15, |v14|, |v14|
	v_mul_f32_e32 v16, 0x3fb8aa3b, v15
	v_rndne_f32_e32 v17, v16
	v_sub_f32_e32 v18, v16, v17
	v_fma_f32 v16, v15, s13, -v16
	v_fmac_f32_e32 v16, 0x32a5705f, v15
	v_add_f32_e32 v16, v18, v16
	v_cvt_i32_f32_e32 v17, v17
	v_exp_f32_e32 v16, v16
	v_cmp_ngt_f32_e32 vcc, s14, v15
	v_ldexp_f32 v16, v16, v17
	v_cndmask_b32_e32 v16, 0, v16, vcc
	v_cmp_nlt_f32_e32 vcc, s15, v15
	v_cndmask_b32_e32 v15, v13, v16, vcc
	v_add_f32_e32 v15, 1.0, v15
	v_rcp_f32_e32 v15, v15
	v_fma_f32 v15, v15, -2.0, 1.0
.LBB72_5:                               ;   in Loop: Header=BB72_3 Depth=1
	s_andn2_saveexec_b64 s[6:7], s[6:7]
; %bb.6:                                ;   in Loop: Header=BB72_3 Depth=1
	v_mul_f32_e32 v15, v14, v14
	v_mov_b32_e32 v16, 0x3ca908c9
	v_fmac_f32_e32 v16, 0xbbbac73d, v15
	v_fma_f32 v16, v15, v16, v10
	v_fma_f32 v16, v15, v16, v11
	;; [unrolled: 1-line block ×3, first 2 shown]
	v_mul_f32_e64 v16, |v14|, v16
	v_fma_f32 v15, v15, v16, |v14|
; %bb.7:                                ;   in Loop: Header=BB72_3 Depth=1
	s_or_b64 exec, exec, s[6:7]
	v_lshrrev_b32_e32 v16, 16, v2
	v_fma_mixlo_f16 v18, v2, s11, 0 op_sel:[1,0,0] op_sel_hi:[1,0,0]
	v_fma_mixlo_f16 v17, v2, s10, 0 op_sel:[1,0,0] op_sel_hi:[1,0,0]
	v_fma_f16 v18, v16, v18, 1.0
	v_mul_f16_e32 v17, v18, v17
	v_cvt_f32_f16_e32 v17, v17
                                        ; implicit-def: $vgpr18
	v_cmp_nlt_f32_e64 s[6:7], |v17|, s12
	s_and_saveexec_b64 s[18:19], s[6:7]
	s_xor_b64 s[6:7], exec, s[18:19]
	s_cbranch_execz .LBB72_9
; %bb.8:                                ;   in Loop: Header=BB72_3 Depth=1
	v_add_f32_e64 v18, |v17|, |v17|
	v_mul_f32_e32 v19, 0x3fb8aa3b, v18
	v_rndne_f32_e32 v20, v19
	v_sub_f32_e32 v21, v19, v20
	v_fma_f32 v19, v18, s13, -v19
	v_fmac_f32_e32 v19, 0x32a5705f, v18
	v_add_f32_e32 v19, v21, v19
	v_cvt_i32_f32_e32 v20, v20
	v_exp_f32_e32 v19, v19
	v_cmp_ngt_f32_e32 vcc, s14, v18
	v_ldexp_f32 v19, v19, v20
	v_cndmask_b32_e32 v19, 0, v19, vcc
	v_cmp_nlt_f32_e32 vcc, s15, v18
	v_cndmask_b32_e32 v18, v13, v19, vcc
	v_add_f32_e32 v18, 1.0, v18
	v_rcp_f32_e32 v18, v18
	v_fma_f32 v18, v18, -2.0, 1.0
.LBB72_9:                               ;   in Loop: Header=BB72_3 Depth=1
	s_andn2_saveexec_b64 s[6:7], s[6:7]
; %bb.10:                               ;   in Loop: Header=BB72_3 Depth=1
	v_mul_f32_e32 v18, v17, v17
	v_mov_b32_e32 v19, 0x3ca908c9
	v_fmac_f32_e32 v19, 0xbbbac73d, v18
	v_fma_f32 v19, v18, v19, v10
	v_fma_f32 v19, v18, v19, v11
	;; [unrolled: 1-line block ×3, first 2 shown]
	v_mul_f32_e64 v19, |v17|, v19
	v_fma_f32 v18, v18, v19, |v17|
; %bb.11:                               ;   in Loop: Header=BB72_3 Depth=1
	s_or_b64 exec, exec, s[6:7]
	v_fma_mixlo_f16 v20, v3, s11, 0 op_sel_hi:[1,0,0]
	v_fma_mixlo_f16 v19, v3, s10, 0 op_sel_hi:[1,0,0]
	v_fma_f16 v20, v3, v20, 1.0
	v_mul_f16_e32 v19, v20, v19
	v_cvt_f32_f16_e32 v19, v19
                                        ; implicit-def: $vgpr20
	v_cmp_nlt_f32_e64 s[6:7], |v19|, s12
	s_and_saveexec_b64 s[18:19], s[6:7]
	s_xor_b64 s[6:7], exec, s[18:19]
	s_cbranch_execz .LBB72_13
; %bb.12:                               ;   in Loop: Header=BB72_3 Depth=1
	v_add_f32_e64 v20, |v19|, |v19|
	v_mul_f32_e32 v21, 0x3fb8aa3b, v20
	v_rndne_f32_e32 v22, v21
	v_sub_f32_e32 v23, v21, v22
	v_fma_f32 v21, v20, s13, -v21
	v_fmac_f32_e32 v21, 0x32a5705f, v20
	v_add_f32_e32 v21, v23, v21
	v_cvt_i32_f32_e32 v22, v22
	v_exp_f32_e32 v21, v21
	v_cmp_ngt_f32_e32 vcc, s14, v20
	v_ldexp_f32 v21, v21, v22
	v_cndmask_b32_e32 v21, 0, v21, vcc
	v_cmp_nlt_f32_e32 vcc, s15, v20
	v_cndmask_b32_e32 v20, v13, v21, vcc
	v_add_f32_e32 v20, 1.0, v20
	v_rcp_f32_e32 v20, v20
	v_fma_f32 v20, v20, -2.0, 1.0
.LBB72_13:                              ;   in Loop: Header=BB72_3 Depth=1
	s_andn2_saveexec_b64 s[6:7], s[6:7]
; %bb.14:                               ;   in Loop: Header=BB72_3 Depth=1
	v_mul_f32_e32 v20, v19, v19
	v_mov_b32_e32 v21, 0x3ca908c9
	v_fmac_f32_e32 v21, 0xbbbac73d, v20
	v_fma_f32 v21, v20, v21, v10
	v_fma_f32 v21, v20, v21, v11
	;; [unrolled: 1-line block ×3, first 2 shown]
	v_mul_f32_e64 v21, |v19|, v21
	v_fma_f32 v20, v20, v21, |v19|
; %bb.15:                               ;   in Loop: Header=BB72_3 Depth=1
	s_or_b64 exec, exec, s[6:7]
	v_lshrrev_b32_e32 v21, 16, v3
	v_fma_mixlo_f16 v23, v3, s11, 0 op_sel:[1,0,0] op_sel_hi:[1,0,0]
	v_fma_mixlo_f16 v22, v3, s10, 0 op_sel:[1,0,0] op_sel_hi:[1,0,0]
	v_fma_f16 v23, v21, v23, 1.0
	v_mul_f16_e32 v22, v23, v22
	v_cvt_f32_f16_e32 v22, v22
                                        ; implicit-def: $vgpr23
	v_cmp_nlt_f32_e64 s[6:7], |v22|, s12
	s_and_saveexec_b64 s[18:19], s[6:7]
	s_xor_b64 s[6:7], exec, s[18:19]
	s_cbranch_execz .LBB72_17
; %bb.16:                               ;   in Loop: Header=BB72_3 Depth=1
	v_add_f32_e64 v23, |v22|, |v22|
	v_mul_f32_e32 v24, 0x3fb8aa3b, v23
	v_rndne_f32_e32 v25, v24
	v_sub_f32_e32 v26, v24, v25
	v_fma_f32 v24, v23, s13, -v24
	v_fmac_f32_e32 v24, 0x32a5705f, v23
	v_add_f32_e32 v24, v26, v24
	v_cvt_i32_f32_e32 v25, v25
	v_exp_f32_e32 v24, v24
	v_cmp_ngt_f32_e32 vcc, s14, v23
	v_ldexp_f32 v24, v24, v25
	v_cndmask_b32_e32 v24, 0, v24, vcc
	v_cmp_nlt_f32_e32 vcc, s15, v23
	v_cndmask_b32_e32 v23, v13, v24, vcc
	v_add_f32_e32 v23, 1.0, v23
	v_rcp_f32_e32 v23, v23
	v_fma_f32 v23, v23, -2.0, 1.0
.LBB72_17:                              ;   in Loop: Header=BB72_3 Depth=1
	s_andn2_saveexec_b64 s[6:7], s[6:7]
; %bb.18:                               ;   in Loop: Header=BB72_3 Depth=1
	v_mul_f32_e32 v23, v22, v22
	v_mov_b32_e32 v24, 0x3ca908c9
	v_fmac_f32_e32 v24, 0xbbbac73d, v23
	v_fma_f32 v24, v23, v24, v10
	v_fma_f32 v24, v23, v24, v11
	v_fma_f32 v24, v23, v24, v12
	v_mul_f32_e64 v24, |v22|, v24
	v_fma_f32 v23, v23, v24, |v22|
; %bb.19:                               ;   in Loop: Header=BB72_3 Depth=1
	s_or_b64 exec, exec, s[6:7]
	v_fma_mixlo_f16 v25, v4, s11, 0 op_sel_hi:[1,0,0]
	v_fma_mixlo_f16 v24, v4, s10, 0 op_sel_hi:[1,0,0]
	v_fma_f16 v25, v4, v25, 1.0
	v_mul_f16_e32 v24, v25, v24
	v_cvt_f32_f16_e32 v24, v24
                                        ; implicit-def: $vgpr25
	v_cmp_nlt_f32_e64 s[6:7], |v24|, s12
	s_and_saveexec_b64 s[18:19], s[6:7]
	s_xor_b64 s[6:7], exec, s[18:19]
	s_cbranch_execz .LBB72_21
; %bb.20:                               ;   in Loop: Header=BB72_3 Depth=1
	v_add_f32_e64 v25, |v24|, |v24|
	v_mul_f32_e32 v26, 0x3fb8aa3b, v25
	v_rndne_f32_e32 v27, v26
	v_sub_f32_e32 v28, v26, v27
	v_fma_f32 v26, v25, s13, -v26
	v_fmac_f32_e32 v26, 0x32a5705f, v25
	v_add_f32_e32 v26, v28, v26
	v_cvt_i32_f32_e32 v27, v27
	v_exp_f32_e32 v26, v26
	v_cmp_ngt_f32_e32 vcc, s14, v25
	v_ldexp_f32 v26, v26, v27
	v_cndmask_b32_e32 v26, 0, v26, vcc
	v_cmp_nlt_f32_e32 vcc, s15, v25
	v_cndmask_b32_e32 v25, v13, v26, vcc
	v_add_f32_e32 v25, 1.0, v25
	v_rcp_f32_e32 v25, v25
	v_fma_f32 v25, v25, -2.0, 1.0
.LBB72_21:                              ;   in Loop: Header=BB72_3 Depth=1
	s_andn2_saveexec_b64 s[6:7], s[6:7]
; %bb.22:                               ;   in Loop: Header=BB72_3 Depth=1
	v_mul_f32_e32 v25, v24, v24
	v_mov_b32_e32 v26, 0x3ca908c9
	v_fmac_f32_e32 v26, 0xbbbac73d, v25
	v_fma_f32 v26, v25, v26, v10
	v_fma_f32 v26, v25, v26, v11
	;; [unrolled: 1-line block ×3, first 2 shown]
	v_mul_f32_e64 v26, |v24|, v26
	v_fma_f32 v25, v25, v26, |v24|
; %bb.23:                               ;   in Loop: Header=BB72_3 Depth=1
	s_or_b64 exec, exec, s[6:7]
	v_lshrrev_b32_e32 v26, 16, v4
	v_fma_mixlo_f16 v28, v4, s11, 0 op_sel:[1,0,0] op_sel_hi:[1,0,0]
	v_fma_mixlo_f16 v27, v4, s10, 0 op_sel:[1,0,0] op_sel_hi:[1,0,0]
	v_fma_f16 v28, v26, v28, 1.0
	v_mul_f16_e32 v27, v28, v27
	v_cvt_f32_f16_e32 v27, v27
                                        ; implicit-def: $vgpr28
	v_cmp_nlt_f32_e64 s[6:7], |v27|, s12
	s_and_saveexec_b64 s[18:19], s[6:7]
	s_xor_b64 s[6:7], exec, s[18:19]
	s_cbranch_execz .LBB72_25
; %bb.24:                               ;   in Loop: Header=BB72_3 Depth=1
	v_add_f32_e64 v28, |v27|, |v27|
	v_mul_f32_e32 v29, 0x3fb8aa3b, v28
	v_rndne_f32_e32 v30, v29
	v_sub_f32_e32 v31, v29, v30
	v_fma_f32 v29, v28, s13, -v29
	v_fmac_f32_e32 v29, 0x32a5705f, v28
	v_add_f32_e32 v29, v31, v29
	v_cvt_i32_f32_e32 v30, v30
	v_exp_f32_e32 v29, v29
	v_cmp_ngt_f32_e32 vcc, s14, v28
	v_ldexp_f32 v29, v29, v30
	v_cndmask_b32_e32 v29, 0, v29, vcc
	v_cmp_nlt_f32_e32 vcc, s15, v28
	v_cndmask_b32_e32 v28, v13, v29, vcc
	v_add_f32_e32 v28, 1.0, v28
	v_rcp_f32_e32 v28, v28
	v_fma_f32 v28, v28, -2.0, 1.0
.LBB72_25:                              ;   in Loop: Header=BB72_3 Depth=1
	s_andn2_saveexec_b64 s[6:7], s[6:7]
; %bb.26:                               ;   in Loop: Header=BB72_3 Depth=1
	v_mul_f32_e32 v28, v27, v27
	v_mov_b32_e32 v29, 0x3ca908c9
	v_fmac_f32_e32 v29, 0xbbbac73d, v28
	v_fma_f32 v29, v28, v29, v10
	v_fma_f32 v29, v28, v29, v11
	;; [unrolled: 1-line block ×3, first 2 shown]
	v_mul_f32_e64 v29, |v27|, v29
	v_fma_f32 v28, v28, v29, |v27|
; %bb.27:                               ;   in Loop: Header=BB72_3 Depth=1
	s_or_b64 exec, exec, s[6:7]
	v_fma_mixlo_f16 v30, v5, s11, 0 op_sel_hi:[1,0,0]
	v_fma_mixlo_f16 v29, v5, s10, 0 op_sel_hi:[1,0,0]
	v_fma_f16 v30, v5, v30, 1.0
	v_mul_f16_e32 v29, v30, v29
	v_cvt_f32_f16_e32 v31, v29
                                        ; implicit-def: $vgpr32
	v_cmp_nlt_f32_e64 s[6:7], |v31|, s12
	s_and_saveexec_b64 s[18:19], s[6:7]
	s_xor_b64 s[6:7], exec, s[18:19]
	s_cbranch_execz .LBB72_29
; %bb.28:                               ;   in Loop: Header=BB72_3 Depth=1
	v_add_f32_e64 v29, |v31|, |v31|
	v_mul_f32_e32 v30, 0x3fb8aa3b, v29
	v_rndne_f32_e32 v32, v30
	v_sub_f32_e32 v33, v30, v32
	v_fma_f32 v30, v29, s13, -v30
	v_fmac_f32_e32 v30, 0x32a5705f, v29
	v_add_f32_e32 v30, v33, v30
	v_cvt_i32_f32_e32 v32, v32
	v_exp_f32_e32 v30, v30
	v_cmp_ngt_f32_e32 vcc, s14, v29
	v_ldexp_f32 v30, v30, v32
	v_cndmask_b32_e32 v30, 0, v30, vcc
	v_cmp_nlt_f32_e32 vcc, s15, v29
	v_cndmask_b32_e32 v29, v13, v30, vcc
	v_add_f32_e32 v29, 1.0, v29
	v_rcp_f32_e32 v29, v29
	v_fma_f32 v32, v29, -2.0, 1.0
.LBB72_29:                              ;   in Loop: Header=BB72_3 Depth=1
	s_andn2_saveexec_b64 s[6:7], s[6:7]
; %bb.30:                               ;   in Loop: Header=BB72_3 Depth=1
	v_mul_f32_e32 v29, v31, v31
	v_mov_b32_e32 v30, 0x3ca908c9
	v_fmac_f32_e32 v30, 0xbbbac73d, v29
	v_fma_f32 v30, v29, v30, v10
	v_fma_f32 v30, v29, v30, v11
	v_fma_f32 v30, v29, v30, v12
	v_mul_f32_e64 v30, |v31|, v30
	v_fma_f32 v32, v29, v30, |v31|
; %bb.31:                               ;   in Loop: Header=BB72_3 Depth=1
	s_or_b64 exec, exec, s[6:7]
	v_lshrrev_b32_e32 v29, 16, v5
	v_fma_mixlo_f16 v33, v5, s11, 0 op_sel:[1,0,0] op_sel_hi:[1,0,0]
	v_fma_mixlo_f16 v30, v5, s10, 0 op_sel:[1,0,0] op_sel_hi:[1,0,0]
	v_fma_f16 v33, v29, v33, 1.0
	v_mul_f16_e32 v30, v33, v30
	v_cvt_f32_f16_e32 v30, v30
                                        ; implicit-def: $vgpr33
	v_cmp_nlt_f32_e64 s[6:7], |v30|, s12
	s_and_saveexec_b64 s[18:19], s[6:7]
	s_xor_b64 s[6:7], exec, s[18:19]
	s_cbranch_execz .LBB72_33
; %bb.32:                               ;   in Loop: Header=BB72_3 Depth=1
	v_add_f32_e64 v33, |v30|, |v30|
	v_mul_f32_e32 v34, 0x3fb8aa3b, v33
	v_rndne_f32_e32 v35, v34
	v_sub_f32_e32 v36, v34, v35
	v_fma_f32 v34, v33, s13, -v34
	v_fmac_f32_e32 v34, 0x32a5705f, v33
	v_add_f32_e32 v34, v36, v34
	v_cvt_i32_f32_e32 v35, v35
	v_exp_f32_e32 v34, v34
	v_cmp_ngt_f32_e32 vcc, s14, v33
	v_ldexp_f32 v34, v34, v35
	v_cndmask_b32_e32 v34, 0, v34, vcc
	v_cmp_nlt_f32_e32 vcc, s15, v33
	v_cndmask_b32_e32 v33, v13, v34, vcc
	v_add_f32_e32 v33, 1.0, v33
	v_rcp_f32_e32 v33, v33
	v_fma_f32 v33, v33, -2.0, 1.0
.LBB72_33:                              ;   in Loop: Header=BB72_3 Depth=1
	s_andn2_saveexec_b64 s[6:7], s[6:7]
	s_cbranch_execz .LBB72_2
; %bb.34:                               ;   in Loop: Header=BB72_3 Depth=1
	v_mul_f32_e32 v33, v30, v30
	v_mov_b32_e32 v34, 0x3ca908c9
	v_fmac_f32_e32 v34, 0xbbbac73d, v33
	v_fma_f32 v34, v33, v34, v10
	v_fma_f32 v34, v33, v34, v11
	;; [unrolled: 1-line block ×3, first 2 shown]
	v_mul_f32_e64 v34, |v30|, v34
	v_fma_f32 v33, v33, v34, |v30|
	s_branch .LBB72_2
.LBB72_35:
	s_endpgm
	.section	.rodata,"a",@progbits
	.p2align	6, 0x0
	.amdhsa_kernel _ZN4vllm17activation_kernelIN3c104HalfETnPFT_RKS3_EXadL_ZNS_16gelu_fast_kernelIS2_EES3_S5_EELb1ELb0EEEvPS3_PS4_i
		.amdhsa_group_segment_fixed_size 0
		.amdhsa_private_segment_fixed_size 0
		.amdhsa_kernarg_size 280
		.amdhsa_user_sgpr_count 6
		.amdhsa_user_sgpr_private_segment_buffer 1
		.amdhsa_user_sgpr_dispatch_ptr 0
		.amdhsa_user_sgpr_queue_ptr 0
		.amdhsa_user_sgpr_kernarg_segment_ptr 1
		.amdhsa_user_sgpr_dispatch_id 0
		.amdhsa_user_sgpr_flat_scratch_init 0
		.amdhsa_user_sgpr_kernarg_preload_length 0
		.amdhsa_user_sgpr_kernarg_preload_offset 0
		.amdhsa_user_sgpr_private_segment_size 0
		.amdhsa_uses_dynamic_stack 0
		.amdhsa_system_sgpr_private_segment_wavefront_offset 0
		.amdhsa_system_sgpr_workgroup_id_x 1
		.amdhsa_system_sgpr_workgroup_id_y 0
		.amdhsa_system_sgpr_workgroup_id_z 0
		.amdhsa_system_sgpr_workgroup_info 0
		.amdhsa_system_vgpr_workitem_id 0
		.amdhsa_next_free_vgpr 37
		.amdhsa_next_free_sgpr 20
		.amdhsa_accum_offset 40
		.amdhsa_reserve_vcc 1
		.amdhsa_reserve_flat_scratch 0
		.amdhsa_float_round_mode_32 0
		.amdhsa_float_round_mode_16_64 0
		.amdhsa_float_denorm_mode_32 3
		.amdhsa_float_denorm_mode_16_64 3
		.amdhsa_dx10_clamp 1
		.amdhsa_ieee_mode 1
		.amdhsa_fp16_overflow 0
		.amdhsa_tg_split 0
		.amdhsa_exception_fp_ieee_invalid_op 0
		.amdhsa_exception_fp_denorm_src 0
		.amdhsa_exception_fp_ieee_div_zero 0
		.amdhsa_exception_fp_ieee_overflow 0
		.amdhsa_exception_fp_ieee_underflow 0
		.amdhsa_exception_fp_ieee_inexact 0
		.amdhsa_exception_int_div_zero 0
	.end_amdhsa_kernel
	.section	.text._ZN4vllm17activation_kernelIN3c104HalfETnPFT_RKS3_EXadL_ZNS_16gelu_fast_kernelIS2_EES3_S5_EELb1ELb0EEEvPS3_PS4_i,"axG",@progbits,_ZN4vllm17activation_kernelIN3c104HalfETnPFT_RKS3_EXadL_ZNS_16gelu_fast_kernelIS2_EES3_S5_EELb1ELb0EEEvPS3_PS4_i,comdat
.Lfunc_end72:
	.size	_ZN4vllm17activation_kernelIN3c104HalfETnPFT_RKS3_EXadL_ZNS_16gelu_fast_kernelIS2_EES3_S5_EELb1ELb0EEEvPS3_PS4_i, .Lfunc_end72-_ZN4vllm17activation_kernelIN3c104HalfETnPFT_RKS3_EXadL_ZNS_16gelu_fast_kernelIS2_EES3_S5_EELb1ELb0EEEvPS3_PS4_i
                                        ; -- End function
	.section	.AMDGPU.csdata,"",@progbits
; Kernel info:
; codeLenInByte = 2268
; NumSgprs: 24
; NumVgprs: 37
; NumAgprs: 0
; TotalNumVgprs: 37
; ScratchSize: 0
; MemoryBound: 0
; FloatMode: 240
; IeeeMode: 1
; LDSByteSize: 0 bytes/workgroup (compile time only)
; SGPRBlocks: 2
; VGPRBlocks: 4
; NumSGPRsForWavesPerEU: 24
; NumVGPRsForWavesPerEU: 37
; AccumOffset: 40
; Occupancy: 8
; WaveLimiterHint : 0
; COMPUTE_PGM_RSRC2:SCRATCH_EN: 0
; COMPUTE_PGM_RSRC2:USER_SGPR: 6
; COMPUTE_PGM_RSRC2:TRAP_HANDLER: 0
; COMPUTE_PGM_RSRC2:TGID_X_EN: 1
; COMPUTE_PGM_RSRC2:TGID_Y_EN: 0
; COMPUTE_PGM_RSRC2:TGID_Z_EN: 0
; COMPUTE_PGM_RSRC2:TIDIG_COMP_CNT: 0
; COMPUTE_PGM_RSRC3_GFX90A:ACCUM_OFFSET: 9
; COMPUTE_PGM_RSRC3_GFX90A:TG_SPLIT: 0
	.section	.text._ZN4vllm17activation_kernelIN3c108BFloat16ETnPFT_RKS3_EXadL_ZNS_16gelu_fast_kernelIS2_EES3_S5_EELb1ELb0EEEvPS3_PS4_i,"axG",@progbits,_ZN4vllm17activation_kernelIN3c108BFloat16ETnPFT_RKS3_EXadL_ZNS_16gelu_fast_kernelIS2_EES3_S5_EELb1ELb0EEEvPS3_PS4_i,comdat
	.protected	_ZN4vllm17activation_kernelIN3c108BFloat16ETnPFT_RKS3_EXadL_ZNS_16gelu_fast_kernelIS2_EES3_S5_EELb1ELb0EEEvPS3_PS4_i ; -- Begin function _ZN4vllm17activation_kernelIN3c108BFloat16ETnPFT_RKS3_EXadL_ZNS_16gelu_fast_kernelIS2_EES3_S5_EELb1ELb0EEEvPS3_PS4_i
	.globl	_ZN4vllm17activation_kernelIN3c108BFloat16ETnPFT_RKS3_EXadL_ZNS_16gelu_fast_kernelIS2_EES3_S5_EELb1ELb0EEEvPS3_PS4_i
	.p2align	8
	.type	_ZN4vllm17activation_kernelIN3c108BFloat16ETnPFT_RKS3_EXadL_ZNS_16gelu_fast_kernelIS2_EES3_S5_EELb1ELb0EEEvPS3_PS4_i,@function
_ZN4vllm17activation_kernelIN3c108BFloat16ETnPFT_RKS3_EXadL_ZNS_16gelu_fast_kernelIS2_EES3_S5_EELb1ELb0EEEvPS3_PS4_i: ; @_ZN4vllm17activation_kernelIN3c108BFloat16ETnPFT_RKS3_EXadL_ZNS_16gelu_fast_kernelIS2_EES3_S5_EELb1ELb0EEEvPS3_PS4_i
; %bb.0:
	s_load_dword s0, s[4:5], 0x10
	s_waitcnt lgkmcnt(0)
	s_ashr_i32 s1, s0, 31
	s_lshr_b32 s1, s1, 29
	s_add_i32 s1, s0, s1
	s_ashr_i32 s10, s1, 3
	v_cmp_gt_i32_e32 vcc, s10, v0
	s_and_saveexec_b64 s[2:3], vcc
	s_cbranch_execz .LBB73_35
; %bb.1:
	s_load_dword s1, s[4:5], 0x24
	s_load_dwordx4 s[12:15], s[4:5], 0x0
	v_lshlrev_b32_e32 v2, 4, v0
	s_mul_i32 s2, s6, s0
	s_mov_b32 s3, 0
	s_lshl_b64 s[4:5], s[2:3], 1
	s_waitcnt lgkmcnt(0)
	v_mov_b32_e32 v1, s13
	v_add_co_u32_e32 v6, vcc, s12, v2
	v_addc_co_u32_e32 v1, vcc, 0, v1, vcc
	s_and_b32 s2, s1, 0xffff
	v_mov_b32_e32 v3, s15
	v_add_co_u32_e32 v8, vcc, s14, v2
	s_lshl_b32 s11, s2, 4
	v_addc_co_u32_e32 v7, vcc, 0, v3, vcc
	s_mov_b64 s[6:7], 0
	v_mov_b32_e32 v9, s5
	s_movk_i32 s12, 0x7fff
	v_mov_b32_e32 v10, 0x7fc00000
	s_mov_b32 s13, 0x3f200000
	s_mov_b32 s14, 0x3fb8aa3b
	;; [unrolled: 1-line block ×4, first 2 shown]
	v_mov_b32_e32 v11, 0xbd5c1c4e
	v_mov_b32_e32 v12, 0x3e088382
	;; [unrolled: 1-line block ×3, first 2 shown]
	s_brev_b32 s17, -2
	s_mov_b32 s18, 0x5040100
	v_mov_b32_e32 v14, 0x7f800000
	v_mov_b32_e32 v15, 0x7fc0
	s_branch .LBB73_3
.LBB73_2:                               ;   in Loop: Header=BB73_3 Depth=1
	s_or_b64 exec, exec, s[0:1]
	v_bfi_b32 v34, s17, v34, v35
	v_bfe_u32 v35, v34, 16, 1
	v_add3_u32 v35, v34, v35, s12
	v_and_b32_e32 v35, 0xffff0000, v35
	v_add_f32_e32 v35, 1.0, v35
	v_cmp_o_f32_e32 vcc, v34, v34
	v_cndmask_b32_e32 v34, v10, v35, vcc
	v_mul_f32_e32 v33, 0.5, v33
	v_bfe_u32 v35, v34, 16, 1
	v_bfe_u32 v36, v33, 16, 1
	v_add3_u32 v35, v34, v35, s12
	v_add3_u32 v36, v33, v36, s12
	v_and_b32_e32 v35, 0xffff0000, v35
	v_cmp_o_f32_e32 vcc, v34, v34
	v_and_b32_e32 v36, 0xffff0000, v36
	v_cndmask_b32_e32 v34, v10, v35, vcc
	v_cmp_o_f32_e32 vcc, v33, v33
	v_cndmask_b32_e32 v33, v10, v36, vcc
	v_mul_f32_e32 v33, v33, v34
	v_bfi_b32 v29, s17, v29, v30
	v_bfe_u32 v34, v33, 16, 1
	v_bfe_u32 v30, v29, 16, 1
	v_add3_u32 v34, v33, v34, s12
	v_add3_u32 v30, v29, v30, s12
	v_lshrrev_b32_e32 v34, 16, v34
	v_cmp_o_f32_e32 vcc, v33, v33
	v_and_b32_e32 v30, 0xffff0000, v30
	v_cndmask_b32_e32 v33, v15, v34, vcc
	v_add_f32_e32 v30, 1.0, v30
	v_cmp_o_f32_e32 vcc, v29, v29
	v_cndmask_b32_e32 v29, v10, v30, vcc
	v_mul_f32_e32 v4, 0.5, v4
	v_bfe_u32 v30, v29, 16, 1
	v_bfe_u32 v34, v4, 16, 1
	v_add3_u32 v30, v29, v30, s12
	v_add3_u32 v34, v4, v34, s12
	v_and_b32_e32 v30, 0xffff0000, v30
	v_cmp_o_f32_e32 vcc, v29, v29
	v_and_b32_e32 v34, 0xffff0000, v34
	v_cndmask_b32_e32 v29, v10, v30, vcc
	v_cmp_o_f32_e32 vcc, v4, v4
	v_cndmask_b32_e32 v4, v10, v34, vcc
	v_mul_f32_e32 v4, v4, v29
	v_bfi_b32 v27, s17, v27, v28
	v_bfe_u32 v29, v4, 16, 1
	v_bfe_u32 v28, v27, 16, 1
	v_add3_u32 v29, v4, v29, s12
	v_add3_u32 v28, v27, v28, s12
	v_lshrrev_b32_e32 v29, 16, v29
	v_cmp_o_f32_e32 vcc, v4, v4
	v_and_b32_e32 v28, 0xffff0000, v28
	v_cndmask_b32_e32 v4, v15, v29, vcc
	;; [unrolled: 24-line block ×6, first 2 shown]
	v_add_f32_e32 v18, 1.0, v18
	v_cmp_o_f32_e32 vcc, v17, v17
	v_cndmask_b32_e32 v17, v10, v18, vcc
	v_mul_f32_e32 v16, 0.5, v16
	v_bfe_u32 v18, v17, 16, 1
	v_bfe_u32 v19, v16, 16, 1
	v_add3_u32 v18, v17, v18, s12
	v_add3_u32 v19, v16, v19, s12
	v_and_b32_e32 v18, 0xffff0000, v18
	v_cmp_o_f32_e32 vcc, v17, v17
	v_and_b32_e32 v19, 0xffff0000, v19
	v_cndmask_b32_e32 v17, v10, v18, vcc
	v_cmp_o_f32_e32 vcc, v16, v16
	v_cndmask_b32_e32 v16, v10, v19, vcc
	v_mul_f32_e32 v16, v16, v17
	v_bfe_u32 v17, v16, 16, 1
	v_add3_u32 v17, v16, v17, s12
	v_lshrrev_b32_e32 v17, 16, v17
	v_cmp_o_f32_e32 vcc, v16, v16
	v_bfi_b32 v16, s17, v31, v32
	v_cndmask_b32_e32 v18, v15, v17, vcc
	v_bfe_u32 v17, v16, 16, 1
	v_add3_u32 v17, v16, v17, s12
	v_and_b32_e32 v17, 0xffff0000, v17
	v_add_f32_e32 v17, 1.0, v17
	v_cmp_o_f32_e32 vcc, v16, v16
	v_cndmask_b32_e32 v16, v10, v17, vcc
	v_mul_f32_e32 v5, 0.5, v5
	v_bfe_u32 v17, v16, 16, 1
	v_bfe_u32 v19, v5, 16, 1
	v_add3_u32 v17, v16, v17, s12
	v_add3_u32 v19, v5, v19, s12
	v_and_b32_e32 v17, 0xffff0000, v17
	v_cmp_o_f32_e32 vcc, v16, v16
	v_and_b32_e32 v19, 0xffff0000, v19
	v_cndmask_b32_e32 v16, v10, v17, vcc
	v_cmp_o_f32_e32 vcc, v5, v5
	v_cndmask_b32_e32 v5, v10, v19, vcc
	v_mul_f32_e32 v5, v5, v16
	v_bfe_u32 v16, v5, 16, 1
	v_add3_u32 v16, v5, v16, s12
	v_lshrrev_b32_e32 v16, 16, v16
	v_cmp_o_f32_e32 vcc, v5, v5
	v_cndmask_b32_e32 v5, v15, v16, vcc
	v_mov_b32_e32 v17, s5
	v_add_co_u32_e32 v16, vcc, s4, v6
	v_addc_co_u32_e32 v17, vcc, v1, v17, vcc
	v_perm_b32 v5, v5, v33, s18
	v_perm_b32 v4, v4, v26, s18
	;; [unrolled: 1-line block ×4, first 2 shown]
	global_store_dwordx4 v[16:17], v[2:5], off
	v_add_co_u32_e32 v6, vcc, s11, v6
	v_mov_b32_e32 v2, s3
	v_add_u32_e32 v0, s2, v0
	v_addc_co_u32_e32 v1, vcc, v1, v2, vcc
	v_cmp_le_i32_e32 vcc, s10, v0
	s_or_b64 s[6:7], vcc, s[6:7]
	v_add_co_u32_e32 v8, vcc, s11, v8
	v_addc_co_u32_e32 v7, vcc, v7, v2, vcc
	s_andn2_b64 exec, exec, s[6:7]
	s_cbranch_execz .LBB73_35
.LBB73_3:                               ; =>This Inner Loop Header: Depth=1
	v_add_co_u32_e32 v2, vcc, s4, v8
	v_addc_co_u32_e32 v3, vcc, v7, v9, vcc
	global_load_dwordx4 v[2:5], v[2:3], off
	s_waitcnt vmcnt(0)
	v_lshlrev_b32_e32 v16, 16, v2
	v_mul_f32_e32 v18, 0x3d372713, v16
	v_bfe_u32 v19, v18, 16, 1
	v_add3_u32 v19, v18, v19, s12
	v_and_b32_e32 v19, 0xffff0000, v19
	v_cmp_o_f32_e32 vcc, v18, v18
	v_cndmask_b32_e32 v18, v10, v19, vcc
	v_mul_f32_e32 v17, 0x3f4c422a, v16
	v_mul_f32_e32 v18, v18, v16
	v_bfe_u32 v20, v17, 16, 1
	v_bfe_u32 v19, v18, 16, 1
	v_add3_u32 v20, v17, v20, s12
	v_add3_u32 v19, v18, v19, s12
	v_and_b32_e32 v20, 0xffff0000, v20
	v_cmp_o_f32_e32 vcc, v17, v17
	v_and_b32_e32 v19, 0xffff0000, v19
	v_cndmask_b32_e32 v17, v10, v20, vcc
	v_add_f32_e32 v19, 1.0, v19
	v_cmp_o_f32_e32 vcc, v18, v18
	v_cndmask_b32_e32 v18, v10, v19, vcc
	v_bfe_u32 v19, v18, 16, 1
	v_add3_u32 v19, v18, v19, s12
	v_and_b32_e32 v19, 0xffff0000, v19
	v_cmp_o_f32_e32 vcc, v18, v18
	v_cndmask_b32_e32 v18, v10, v19, vcc
	v_mul_f32_e32 v17, v17, v18
	v_bfe_u32 v18, v17, 16, 1
	v_add3_u32 v18, v17, v18, s12
	v_and_b32_e32 v18, 0xffff0000, v18
	v_cmp_u_f32_e32 vcc, v17, v17
	v_cndmask_b32_e64 v17, |v18|, v10, vcc
	v_cmp_ngt_f32_e64 s[0:1], s13, v17
	s_and_saveexec_b64 s[8:9], s[0:1]
	s_xor_b64 s[8:9], exec, s[8:9]
	s_cbranch_execz .LBB73_5
; %bb.4:                                ;   in Loop: Header=BB73_3 Depth=1
	v_add_f32_e32 v17, v17, v17
	v_mul_f32_e32 v19, 0x3fb8aa3b, v17
	v_rndne_f32_e32 v20, v19
	v_sub_f32_e32 v21, v19, v20
	v_fma_f32 v19, v17, s14, -v19
	v_fmac_f32_e32 v19, 0x32a5705f, v17
	v_add_f32_e32 v19, v21, v19
	v_cvt_i32_f32_e32 v20, v20
	v_exp_f32_e32 v19, v19
	v_cmp_ngt_f32_e64 s[0:1], s15, v17
	v_ldexp_f32 v19, v19, v20
	v_cndmask_b32_e64 v19, 0, v19, s[0:1]
	v_cmp_nlt_f32_e64 s[0:1], s16, v17
	v_cndmask_b32_e64 v17, v14, v19, s[0:1]
	v_add_f32_e32 v17, 1.0, v17
	v_rcp_f32_e32 v17, v17
	v_fma_f32 v17, v17, -2.0, 1.0
.LBB73_5:                               ;   in Loop: Header=BB73_3 Depth=1
	s_or_saveexec_b64 s[0:1], s[8:9]
	v_cndmask_b32_e32 v18, v18, v10, vcc
	s_xor_b64 exec, exec, s[0:1]
; %bb.6:                                ;   in Loop: Header=BB73_3 Depth=1
	v_mul_f32_e32 v19, v18, v18
	v_mov_b32_e32 v20, 0x3ca908c9
	v_fmac_f32_e32 v20, 0xbbbac73d, v19
	v_fma_f32 v20, v19, v20, v11
	v_fma_f32 v20, v19, v20, v12
	;; [unrolled: 1-line block ×3, first 2 shown]
	v_mul_f32_e32 v20, v17, v20
	v_fmac_f32_e32 v17, v19, v20
; %bb.7:                                ;   in Loop: Header=BB73_3 Depth=1
	s_or_b64 exec, exec, s[0:1]
	v_and_b32_e32 v2, 0xffff0000, v2
	v_mul_f32_e32 v20, 0x3d372713, v2
	v_bfe_u32 v21, v20, 16, 1
	v_add3_u32 v21, v20, v21, s12
	v_and_b32_e32 v21, 0xffff0000, v21
	v_cmp_o_f32_e32 vcc, v20, v20
	v_cndmask_b32_e32 v20, v10, v21, vcc
	v_mul_f32_e32 v20, v20, v2
	v_bfe_u32 v21, v20, 16, 1
	v_add3_u32 v21, v20, v21, s12
	v_and_b32_e32 v21, 0xffff0000, v21
	v_add_f32_e32 v21, 1.0, v21
	v_cmp_o_f32_e32 vcc, v20, v20
	v_cndmask_b32_e32 v20, v10, v21, vcc
	v_mul_f32_e32 v19, 0x3f4c422a, v2
	v_bfe_u32 v21, v20, 16, 1
	v_bfe_u32 v22, v19, 16, 1
	v_add3_u32 v21, v20, v21, s12
	v_add3_u32 v22, v19, v22, s12
	v_and_b32_e32 v21, 0xffff0000, v21
	v_cmp_o_f32_e32 vcc, v20, v20
	v_and_b32_e32 v22, 0xffff0000, v22
	v_cndmask_b32_e32 v20, v10, v21, vcc
	v_cmp_o_f32_e32 vcc, v19, v19
	v_cndmask_b32_e32 v19, v10, v22, vcc
	v_mul_f32_e32 v19, v19, v20
	v_bfe_u32 v20, v19, 16, 1
	v_add3_u32 v20, v19, v20, s12
	v_and_b32_e32 v20, 0xffff0000, v20
	v_cmp_u_f32_e32 vcc, v19, v19
	v_cndmask_b32_e64 v19, |v20|, v10, vcc
	v_cmp_ngt_f32_e64 s[0:1], s13, v19
	s_and_saveexec_b64 s[8:9], s[0:1]
	s_xor_b64 s[8:9], exec, s[8:9]
	s_cbranch_execz .LBB73_9
; %bb.8:                                ;   in Loop: Header=BB73_3 Depth=1
	v_add_f32_e32 v19, v19, v19
	v_mul_f32_e32 v21, 0x3fb8aa3b, v19
	v_rndne_f32_e32 v22, v21
	v_sub_f32_e32 v23, v21, v22
	v_fma_f32 v21, v19, s14, -v21
	v_fmac_f32_e32 v21, 0x32a5705f, v19
	v_add_f32_e32 v21, v23, v21
	v_cvt_i32_f32_e32 v22, v22
	v_exp_f32_e32 v21, v21
	v_cmp_ngt_f32_e64 s[0:1], s15, v19
	v_ldexp_f32 v21, v21, v22
	v_cndmask_b32_e64 v21, 0, v21, s[0:1]
	v_cmp_nlt_f32_e64 s[0:1], s16, v19
	v_cndmask_b32_e64 v19, v14, v21, s[0:1]
	v_add_f32_e32 v19, 1.0, v19
	v_rcp_f32_e32 v19, v19
	v_fma_f32 v19, v19, -2.0, 1.0
.LBB73_9:                               ;   in Loop: Header=BB73_3 Depth=1
	s_or_saveexec_b64 s[0:1], s[8:9]
	v_cndmask_b32_e32 v20, v20, v10, vcc
	s_xor_b64 exec, exec, s[0:1]
; %bb.10:                               ;   in Loop: Header=BB73_3 Depth=1
	v_mul_f32_e32 v21, v20, v20
	v_mov_b32_e32 v22, 0x3ca908c9
	v_fmac_f32_e32 v22, 0xbbbac73d, v21
	v_fma_f32 v22, v21, v22, v11
	v_fma_f32 v22, v21, v22, v12
	v_fma_f32 v22, v21, v22, v13
	v_mul_f32_e32 v22, v19, v22
	v_fmac_f32_e32 v19, v21, v22
; %bb.11:                               ;   in Loop: Header=BB73_3 Depth=1
	s_or_b64 exec, exec, s[0:1]
	v_lshlrev_b32_e32 v21, 16, v3
	v_mul_f32_e32 v23, 0x3d372713, v21
	v_bfe_u32 v24, v23, 16, 1
	v_add3_u32 v24, v23, v24, s12
	v_and_b32_e32 v24, 0xffff0000, v24
	v_cmp_o_f32_e32 vcc, v23, v23
	v_cndmask_b32_e32 v23, v10, v24, vcc
	v_mul_f32_e32 v23, v23, v21
	v_bfe_u32 v24, v23, 16, 1
	v_add3_u32 v24, v23, v24, s12
	v_and_b32_e32 v24, 0xffff0000, v24
	v_add_f32_e32 v24, 1.0, v24
	v_cmp_o_f32_e32 vcc, v23, v23
	v_cndmask_b32_e32 v23, v10, v24, vcc
	v_mul_f32_e32 v22, 0x3f4c422a, v21
	v_bfe_u32 v24, v23, 16, 1
	v_bfe_u32 v25, v22, 16, 1
	v_add3_u32 v24, v23, v24, s12
	v_add3_u32 v25, v22, v25, s12
	v_and_b32_e32 v24, 0xffff0000, v24
	v_cmp_o_f32_e32 vcc, v23, v23
	v_and_b32_e32 v25, 0xffff0000, v25
	v_cndmask_b32_e32 v23, v10, v24, vcc
	v_cmp_o_f32_e32 vcc, v22, v22
	v_cndmask_b32_e32 v22, v10, v25, vcc
	v_mul_f32_e32 v22, v22, v23
	v_bfe_u32 v23, v22, 16, 1
	v_add3_u32 v23, v22, v23, s12
	v_and_b32_e32 v23, 0xffff0000, v23
	v_cmp_u_f32_e32 vcc, v22, v22
	v_cndmask_b32_e64 v22, |v23|, v10, vcc
	v_cmp_ngt_f32_e64 s[0:1], s13, v22
	s_and_saveexec_b64 s[8:9], s[0:1]
	s_xor_b64 s[8:9], exec, s[8:9]
	s_cbranch_execz .LBB73_13
; %bb.12:                               ;   in Loop: Header=BB73_3 Depth=1
	v_add_f32_e32 v22, v22, v22
	v_mul_f32_e32 v24, 0x3fb8aa3b, v22
	v_rndne_f32_e32 v25, v24
	v_sub_f32_e32 v26, v24, v25
	v_fma_f32 v24, v22, s14, -v24
	v_fmac_f32_e32 v24, 0x32a5705f, v22
	v_add_f32_e32 v24, v26, v24
	v_cvt_i32_f32_e32 v25, v25
	v_exp_f32_e32 v24, v24
	v_cmp_ngt_f32_e64 s[0:1], s15, v22
	v_ldexp_f32 v24, v24, v25
	v_cndmask_b32_e64 v24, 0, v24, s[0:1]
	v_cmp_nlt_f32_e64 s[0:1], s16, v22
	v_cndmask_b32_e64 v22, v14, v24, s[0:1]
	v_add_f32_e32 v22, 1.0, v22
	v_rcp_f32_e32 v22, v22
	v_fma_f32 v22, v22, -2.0, 1.0
.LBB73_13:                              ;   in Loop: Header=BB73_3 Depth=1
	s_or_saveexec_b64 s[0:1], s[8:9]
	v_cndmask_b32_e32 v23, v23, v10, vcc
	s_xor_b64 exec, exec, s[0:1]
; %bb.14:                               ;   in Loop: Header=BB73_3 Depth=1
	v_mul_f32_e32 v24, v23, v23
	v_mov_b32_e32 v25, 0x3ca908c9
	v_fmac_f32_e32 v25, 0xbbbac73d, v24
	v_fma_f32 v25, v24, v25, v11
	v_fma_f32 v25, v24, v25, v12
	;; [unrolled: 1-line block ×3, first 2 shown]
	v_mul_f32_e32 v25, v22, v25
	v_fmac_f32_e32 v22, v24, v25
; %bb.15:                               ;   in Loop: Header=BB73_3 Depth=1
	s_or_b64 exec, exec, s[0:1]
	v_and_b32_e32 v3, 0xffff0000, v3
	v_mul_f32_e32 v25, 0x3d372713, v3
	v_bfe_u32 v26, v25, 16, 1
	v_add3_u32 v26, v25, v26, s12
	v_and_b32_e32 v26, 0xffff0000, v26
	v_cmp_o_f32_e32 vcc, v25, v25
	v_cndmask_b32_e32 v25, v10, v26, vcc
	v_mul_f32_e32 v25, v25, v3
	v_bfe_u32 v26, v25, 16, 1
	v_add3_u32 v26, v25, v26, s12
	v_and_b32_e32 v26, 0xffff0000, v26
	v_add_f32_e32 v26, 1.0, v26
	v_cmp_o_f32_e32 vcc, v25, v25
	v_cndmask_b32_e32 v25, v10, v26, vcc
	v_mul_f32_e32 v24, 0x3f4c422a, v3
	v_bfe_u32 v26, v25, 16, 1
	v_bfe_u32 v27, v24, 16, 1
	v_add3_u32 v26, v25, v26, s12
	v_add3_u32 v27, v24, v27, s12
	v_and_b32_e32 v26, 0xffff0000, v26
	v_cmp_o_f32_e32 vcc, v25, v25
	v_and_b32_e32 v27, 0xffff0000, v27
	v_cndmask_b32_e32 v25, v10, v26, vcc
	v_cmp_o_f32_e32 vcc, v24, v24
	v_cndmask_b32_e32 v24, v10, v27, vcc
	v_mul_f32_e32 v24, v24, v25
	v_bfe_u32 v25, v24, 16, 1
	v_add3_u32 v25, v24, v25, s12
	v_and_b32_e32 v25, 0xffff0000, v25
	v_cmp_u_f32_e32 vcc, v24, v24
	v_cndmask_b32_e64 v24, |v25|, v10, vcc
	v_cmp_ngt_f32_e64 s[0:1], s13, v24
	s_and_saveexec_b64 s[8:9], s[0:1]
	s_xor_b64 s[8:9], exec, s[8:9]
	s_cbranch_execz .LBB73_17
; %bb.16:                               ;   in Loop: Header=BB73_3 Depth=1
	v_add_f32_e32 v24, v24, v24
	v_mul_f32_e32 v26, 0x3fb8aa3b, v24
	v_rndne_f32_e32 v27, v26
	v_sub_f32_e32 v28, v26, v27
	v_fma_f32 v26, v24, s14, -v26
	v_fmac_f32_e32 v26, 0x32a5705f, v24
	v_add_f32_e32 v26, v28, v26
	v_cvt_i32_f32_e32 v27, v27
	v_exp_f32_e32 v26, v26
	v_cmp_ngt_f32_e64 s[0:1], s15, v24
	v_ldexp_f32 v26, v26, v27
	v_cndmask_b32_e64 v26, 0, v26, s[0:1]
	v_cmp_nlt_f32_e64 s[0:1], s16, v24
	v_cndmask_b32_e64 v24, v14, v26, s[0:1]
	v_add_f32_e32 v24, 1.0, v24
	v_rcp_f32_e32 v24, v24
	v_fma_f32 v24, v24, -2.0, 1.0
.LBB73_17:                              ;   in Loop: Header=BB73_3 Depth=1
	s_or_saveexec_b64 s[0:1], s[8:9]
	v_cndmask_b32_e32 v25, v25, v10, vcc
	s_xor_b64 exec, exec, s[0:1]
; %bb.18:                               ;   in Loop: Header=BB73_3 Depth=1
	v_mul_f32_e32 v26, v25, v25
	v_mov_b32_e32 v27, 0x3ca908c9
	v_fmac_f32_e32 v27, 0xbbbac73d, v26
	v_fma_f32 v27, v26, v27, v11
	v_fma_f32 v27, v26, v27, v12
	;; [unrolled: 1-line block ×3, first 2 shown]
	v_mul_f32_e32 v27, v24, v27
	v_fmac_f32_e32 v24, v26, v27
; %bb.19:                               ;   in Loop: Header=BB73_3 Depth=1
	s_or_b64 exec, exec, s[0:1]
	v_lshlrev_b32_e32 v26, 16, v4
	v_mul_f32_e32 v28, 0x3d372713, v26
	v_bfe_u32 v29, v28, 16, 1
	v_add3_u32 v29, v28, v29, s12
	v_and_b32_e32 v29, 0xffff0000, v29
	v_cmp_o_f32_e32 vcc, v28, v28
	v_cndmask_b32_e32 v28, v10, v29, vcc
	v_mul_f32_e32 v28, v28, v26
	v_bfe_u32 v29, v28, 16, 1
	v_add3_u32 v29, v28, v29, s12
	v_and_b32_e32 v29, 0xffff0000, v29
	v_add_f32_e32 v29, 1.0, v29
	v_cmp_o_f32_e32 vcc, v28, v28
	v_cndmask_b32_e32 v28, v10, v29, vcc
	v_mul_f32_e32 v27, 0x3f4c422a, v26
	v_bfe_u32 v29, v28, 16, 1
	v_bfe_u32 v30, v27, 16, 1
	v_add3_u32 v29, v28, v29, s12
	v_add3_u32 v30, v27, v30, s12
	v_and_b32_e32 v29, 0xffff0000, v29
	v_cmp_o_f32_e32 vcc, v28, v28
	v_and_b32_e32 v30, 0xffff0000, v30
	v_cndmask_b32_e32 v28, v10, v29, vcc
	v_cmp_o_f32_e32 vcc, v27, v27
	v_cndmask_b32_e32 v27, v10, v30, vcc
	v_mul_f32_e32 v27, v27, v28
	v_bfe_u32 v28, v27, 16, 1
	v_add3_u32 v28, v27, v28, s12
	v_and_b32_e32 v28, 0xffff0000, v28
	v_cmp_u_f32_e32 vcc, v27, v27
	v_cndmask_b32_e64 v27, |v28|, v10, vcc
	v_cmp_ngt_f32_e64 s[0:1], s13, v27
	s_and_saveexec_b64 s[8:9], s[0:1]
	s_xor_b64 s[8:9], exec, s[8:9]
	s_cbranch_execz .LBB73_21
; %bb.20:                               ;   in Loop: Header=BB73_3 Depth=1
	v_add_f32_e32 v27, v27, v27
	v_mul_f32_e32 v29, 0x3fb8aa3b, v27
	v_rndne_f32_e32 v30, v29
	v_sub_f32_e32 v31, v29, v30
	v_fma_f32 v29, v27, s14, -v29
	v_fmac_f32_e32 v29, 0x32a5705f, v27
	v_add_f32_e32 v29, v31, v29
	v_cvt_i32_f32_e32 v30, v30
	v_exp_f32_e32 v29, v29
	v_cmp_ngt_f32_e64 s[0:1], s15, v27
	v_ldexp_f32 v29, v29, v30
	v_cndmask_b32_e64 v29, 0, v29, s[0:1]
	v_cmp_nlt_f32_e64 s[0:1], s16, v27
	v_cndmask_b32_e64 v27, v14, v29, s[0:1]
	v_add_f32_e32 v27, 1.0, v27
	v_rcp_f32_e32 v27, v27
	v_fma_f32 v27, v27, -2.0, 1.0
.LBB73_21:                              ;   in Loop: Header=BB73_3 Depth=1
	s_or_saveexec_b64 s[0:1], s[8:9]
	v_cndmask_b32_e32 v28, v28, v10, vcc
	s_xor_b64 exec, exec, s[0:1]
; %bb.22:                               ;   in Loop: Header=BB73_3 Depth=1
	v_mul_f32_e32 v29, v28, v28
	v_mov_b32_e32 v30, 0x3ca908c9
	v_fmac_f32_e32 v30, 0xbbbac73d, v29
	v_fma_f32 v30, v29, v30, v11
	v_fma_f32 v30, v29, v30, v12
	;; [unrolled: 1-line block ×3, first 2 shown]
	v_mul_f32_e32 v30, v27, v30
	v_fmac_f32_e32 v27, v29, v30
; %bb.23:                               ;   in Loop: Header=BB73_3 Depth=1
	s_or_b64 exec, exec, s[0:1]
	v_and_b32_e32 v4, 0xffff0000, v4
	v_mul_f32_e32 v30, 0x3d372713, v4
	v_bfe_u32 v31, v30, 16, 1
	v_add3_u32 v31, v30, v31, s12
	v_and_b32_e32 v31, 0xffff0000, v31
	v_cmp_o_f32_e32 vcc, v30, v30
	v_cndmask_b32_e32 v30, v10, v31, vcc
	v_mul_f32_e32 v30, v30, v4
	v_bfe_u32 v31, v30, 16, 1
	v_add3_u32 v31, v30, v31, s12
	v_and_b32_e32 v31, 0xffff0000, v31
	v_add_f32_e32 v31, 1.0, v31
	v_cmp_o_f32_e32 vcc, v30, v30
	v_cndmask_b32_e32 v30, v10, v31, vcc
	v_mul_f32_e32 v29, 0x3f4c422a, v4
	v_bfe_u32 v31, v30, 16, 1
	v_bfe_u32 v32, v29, 16, 1
	v_add3_u32 v31, v30, v31, s12
	v_add3_u32 v32, v29, v32, s12
	v_and_b32_e32 v31, 0xffff0000, v31
	v_cmp_o_f32_e32 vcc, v30, v30
	v_and_b32_e32 v32, 0xffff0000, v32
	v_cndmask_b32_e32 v30, v10, v31, vcc
	v_cmp_o_f32_e32 vcc, v29, v29
	v_cndmask_b32_e32 v29, v10, v32, vcc
	v_mul_f32_e32 v29, v29, v30
	v_bfe_u32 v30, v29, 16, 1
	v_add3_u32 v30, v29, v30, s12
	v_and_b32_e32 v30, 0xffff0000, v30
	v_cmp_u_f32_e32 vcc, v29, v29
	v_cndmask_b32_e64 v29, |v30|, v10, vcc
	v_cmp_ngt_f32_e64 s[0:1], s13, v29
	s_and_saveexec_b64 s[8:9], s[0:1]
	s_xor_b64 s[8:9], exec, s[8:9]
	s_cbranch_execz .LBB73_25
; %bb.24:                               ;   in Loop: Header=BB73_3 Depth=1
	v_add_f32_e32 v29, v29, v29
	v_mul_f32_e32 v31, 0x3fb8aa3b, v29
	v_rndne_f32_e32 v32, v31
	v_sub_f32_e32 v33, v31, v32
	v_fma_f32 v31, v29, s14, -v31
	v_fmac_f32_e32 v31, 0x32a5705f, v29
	v_add_f32_e32 v31, v33, v31
	v_cvt_i32_f32_e32 v32, v32
	v_exp_f32_e32 v31, v31
	v_cmp_ngt_f32_e64 s[0:1], s15, v29
	v_ldexp_f32 v31, v31, v32
	v_cndmask_b32_e64 v31, 0, v31, s[0:1]
	v_cmp_nlt_f32_e64 s[0:1], s16, v29
	v_cndmask_b32_e64 v29, v14, v31, s[0:1]
	v_add_f32_e32 v29, 1.0, v29
	v_rcp_f32_e32 v29, v29
	v_fma_f32 v29, v29, -2.0, 1.0
.LBB73_25:                              ;   in Loop: Header=BB73_3 Depth=1
	s_or_saveexec_b64 s[0:1], s[8:9]
	v_cndmask_b32_e32 v30, v30, v10, vcc
	s_xor_b64 exec, exec, s[0:1]
; %bb.26:                               ;   in Loop: Header=BB73_3 Depth=1
	v_mul_f32_e32 v31, v30, v30
	v_mov_b32_e32 v32, 0x3ca908c9
	v_fmac_f32_e32 v32, 0xbbbac73d, v31
	v_fma_f32 v32, v31, v32, v11
	v_fma_f32 v32, v31, v32, v12
	;; [unrolled: 1-line block ×3, first 2 shown]
	v_mul_f32_e32 v32, v29, v32
	v_fmac_f32_e32 v29, v31, v32
; %bb.27:                               ;   in Loop: Header=BB73_3 Depth=1
	s_or_b64 exec, exec, s[0:1]
	v_lshlrev_b32_e32 v33, 16, v5
	v_mul_f32_e32 v32, 0x3d372713, v33
	v_bfe_u32 v34, v32, 16, 1
	v_add3_u32 v34, v32, v34, s12
	v_and_b32_e32 v34, 0xffff0000, v34
	v_cmp_o_f32_e32 vcc, v32, v32
	v_cndmask_b32_e32 v32, v10, v34, vcc
	v_mul_f32_e32 v32, v32, v33
	v_bfe_u32 v34, v32, 16, 1
	v_add3_u32 v34, v32, v34, s12
	v_and_b32_e32 v34, 0xffff0000, v34
	v_add_f32_e32 v34, 1.0, v34
	v_cmp_o_f32_e32 vcc, v32, v32
	v_cndmask_b32_e32 v32, v10, v34, vcc
	v_mul_f32_e32 v31, 0x3f4c422a, v33
	v_bfe_u32 v34, v32, 16, 1
	v_bfe_u32 v35, v31, 16, 1
	v_add3_u32 v34, v32, v34, s12
	v_add3_u32 v35, v31, v35, s12
	v_and_b32_e32 v34, 0xffff0000, v34
	v_cmp_o_f32_e32 vcc, v32, v32
	v_and_b32_e32 v35, 0xffff0000, v35
	v_cndmask_b32_e32 v32, v10, v34, vcc
	v_cmp_o_f32_e32 vcc, v31, v31
	v_cndmask_b32_e32 v31, v10, v35, vcc
	v_mul_f32_e32 v32, v31, v32
	v_bfe_u32 v31, v32, 16, 1
	v_add3_u32 v31, v32, v31, s12
	v_and_b32_e32 v31, 0xffff0000, v31
	v_cmp_u_f32_e32 vcc, v32, v32
	v_cndmask_b32_e64 v34, |v31|, v10, vcc
	v_cmp_ngt_f32_e64 s[0:1], s13, v34
	s_and_saveexec_b64 s[8:9], s[0:1]
	s_xor_b64 s[8:9], exec, s[8:9]
	s_cbranch_execz .LBB73_29
; %bb.28:                               ;   in Loop: Header=BB73_3 Depth=1
	v_add_f32_e32 v32, v34, v34
	v_mul_f32_e32 v34, 0x3fb8aa3b, v32
	v_rndne_f32_e32 v35, v34
	v_sub_f32_e32 v36, v34, v35
	v_fma_f32 v34, v32, s14, -v34
	v_fmac_f32_e32 v34, 0x32a5705f, v32
	v_add_f32_e32 v34, v36, v34
	v_cvt_i32_f32_e32 v35, v35
	v_exp_f32_e32 v34, v34
	v_cmp_ngt_f32_e64 s[0:1], s15, v32
	v_ldexp_f32 v34, v34, v35
	v_cndmask_b32_e64 v34, 0, v34, s[0:1]
	v_cmp_nlt_f32_e64 s[0:1], s16, v32
	v_cndmask_b32_e64 v32, v14, v34, s[0:1]
	v_add_f32_e32 v32, 1.0, v32
	v_rcp_f32_e32 v32, v32
	v_fma_f32 v34, v32, -2.0, 1.0
.LBB73_29:                              ;   in Loop: Header=BB73_3 Depth=1
	s_or_saveexec_b64 s[0:1], s[8:9]
	v_cndmask_b32_e32 v35, v31, v10, vcc
	s_xor_b64 exec, exec, s[0:1]
; %bb.30:                               ;   in Loop: Header=BB73_3 Depth=1
	v_mul_f32_e32 v31, v35, v35
	v_mov_b32_e32 v32, 0x3ca908c9
	v_fmac_f32_e32 v32, 0xbbbac73d, v31
	v_fma_f32 v32, v31, v32, v11
	v_fma_f32 v32, v31, v32, v12
	;; [unrolled: 1-line block ×3, first 2 shown]
	v_mul_f32_e32 v32, v34, v32
	v_fmac_f32_e32 v34, v31, v32
; %bb.31:                               ;   in Loop: Header=BB73_3 Depth=1
	s_or_b64 exec, exec, s[0:1]
	v_and_b32_e32 v5, 0xffff0000, v5
	v_mul_f32_e32 v32, 0x3d372713, v5
	v_bfe_u32 v36, v32, 16, 1
	v_add3_u32 v36, v32, v36, s12
	v_and_b32_e32 v36, 0xffff0000, v36
	v_cmp_o_f32_e32 vcc, v32, v32
	v_cndmask_b32_e32 v32, v10, v36, vcc
	v_mul_f32_e32 v32, v32, v5
	v_bfe_u32 v36, v32, 16, 1
	v_add3_u32 v36, v32, v36, s12
	v_and_b32_e32 v36, 0xffff0000, v36
	v_add_f32_e32 v36, 1.0, v36
	v_cmp_o_f32_e32 vcc, v32, v32
	v_cndmask_b32_e32 v32, v10, v36, vcc
	v_mul_f32_e32 v31, 0x3f4c422a, v5
	v_bfe_u32 v36, v32, 16, 1
	v_bfe_u32 v37, v31, 16, 1
	v_add3_u32 v36, v32, v36, s12
	v_add3_u32 v37, v31, v37, s12
	v_and_b32_e32 v36, 0xffff0000, v36
	v_cmp_o_f32_e32 vcc, v32, v32
	v_and_b32_e32 v37, 0xffff0000, v37
	v_cndmask_b32_e32 v32, v10, v36, vcc
	v_cmp_o_f32_e32 vcc, v31, v31
	v_cndmask_b32_e32 v31, v10, v37, vcc
	v_mul_f32_e32 v31, v31, v32
	v_bfe_u32 v32, v31, 16, 1
	v_add3_u32 v32, v31, v32, s12
	v_and_b32_e32 v32, 0xffff0000, v32
	v_cmp_u_f32_e32 vcc, v31, v31
	v_cndmask_b32_e64 v31, |v32|, v10, vcc
	v_cmp_ngt_f32_e64 s[0:1], s13, v31
	s_and_saveexec_b64 s[8:9], s[0:1]
	s_xor_b64 s[8:9], exec, s[8:9]
	s_cbranch_execz .LBB73_33
; %bb.32:                               ;   in Loop: Header=BB73_3 Depth=1
	v_add_f32_e32 v31, v31, v31
	v_mul_f32_e32 v36, 0x3fb8aa3b, v31
	v_rndne_f32_e32 v37, v36
	v_sub_f32_e32 v38, v36, v37
	v_fma_f32 v36, v31, s14, -v36
	v_fmac_f32_e32 v36, 0x32a5705f, v31
	v_add_f32_e32 v36, v38, v36
	v_cvt_i32_f32_e32 v37, v37
	v_exp_f32_e32 v36, v36
	v_cmp_ngt_f32_e64 s[0:1], s15, v31
	v_ldexp_f32 v36, v36, v37
	v_cndmask_b32_e64 v36, 0, v36, s[0:1]
	v_cmp_nlt_f32_e64 s[0:1], s16, v31
	v_cndmask_b32_e64 v31, v14, v36, s[0:1]
	v_add_f32_e32 v31, 1.0, v31
	v_rcp_f32_e32 v31, v31
	v_fma_f32 v31, v31, -2.0, 1.0
.LBB73_33:                              ;   in Loop: Header=BB73_3 Depth=1
	s_or_saveexec_b64 s[0:1], s[8:9]
	v_cndmask_b32_e32 v32, v32, v10, vcc
	s_xor_b64 exec, exec, s[0:1]
	s_cbranch_execz .LBB73_2
; %bb.34:                               ;   in Loop: Header=BB73_3 Depth=1
	v_mul_f32_e32 v36, v32, v32
	v_mov_b32_e32 v37, 0x3ca908c9
	v_fmac_f32_e32 v37, 0xbbbac73d, v36
	v_fma_f32 v37, v36, v37, v11
	v_fma_f32 v37, v36, v37, v12
	;; [unrolled: 1-line block ×3, first 2 shown]
	v_mul_f32_e32 v37, v31, v37
	v_fmac_f32_e32 v31, v36, v37
	s_branch .LBB73_2
.LBB73_35:
	s_endpgm
	.section	.rodata,"a",@progbits
	.p2align	6, 0x0
	.amdhsa_kernel _ZN4vllm17activation_kernelIN3c108BFloat16ETnPFT_RKS3_EXadL_ZNS_16gelu_fast_kernelIS2_EES3_S5_EELb1ELb0EEEvPS3_PS4_i
		.amdhsa_group_segment_fixed_size 0
		.amdhsa_private_segment_fixed_size 0
		.amdhsa_kernarg_size 280
		.amdhsa_user_sgpr_count 6
		.amdhsa_user_sgpr_private_segment_buffer 1
		.amdhsa_user_sgpr_dispatch_ptr 0
		.amdhsa_user_sgpr_queue_ptr 0
		.amdhsa_user_sgpr_kernarg_segment_ptr 1
		.amdhsa_user_sgpr_dispatch_id 0
		.amdhsa_user_sgpr_flat_scratch_init 0
		.amdhsa_user_sgpr_kernarg_preload_length 0
		.amdhsa_user_sgpr_kernarg_preload_offset 0
		.amdhsa_user_sgpr_private_segment_size 0
		.amdhsa_uses_dynamic_stack 0
		.amdhsa_system_sgpr_private_segment_wavefront_offset 0
		.amdhsa_system_sgpr_workgroup_id_x 1
		.amdhsa_system_sgpr_workgroup_id_y 0
		.amdhsa_system_sgpr_workgroup_id_z 0
		.amdhsa_system_sgpr_workgroup_info 0
		.amdhsa_system_vgpr_workitem_id 0
		.amdhsa_next_free_vgpr 39
		.amdhsa_next_free_sgpr 19
		.amdhsa_accum_offset 40
		.amdhsa_reserve_vcc 1
		.amdhsa_reserve_flat_scratch 0
		.amdhsa_float_round_mode_32 0
		.amdhsa_float_round_mode_16_64 0
		.amdhsa_float_denorm_mode_32 3
		.amdhsa_float_denorm_mode_16_64 3
		.amdhsa_dx10_clamp 1
		.amdhsa_ieee_mode 1
		.amdhsa_fp16_overflow 0
		.amdhsa_tg_split 0
		.amdhsa_exception_fp_ieee_invalid_op 0
		.amdhsa_exception_fp_denorm_src 0
		.amdhsa_exception_fp_ieee_div_zero 0
		.amdhsa_exception_fp_ieee_overflow 0
		.amdhsa_exception_fp_ieee_underflow 0
		.amdhsa_exception_fp_ieee_inexact 0
		.amdhsa_exception_int_div_zero 0
	.end_amdhsa_kernel
	.section	.text._ZN4vllm17activation_kernelIN3c108BFloat16ETnPFT_RKS3_EXadL_ZNS_16gelu_fast_kernelIS2_EES3_S5_EELb1ELb0EEEvPS3_PS4_i,"axG",@progbits,_ZN4vllm17activation_kernelIN3c108BFloat16ETnPFT_RKS3_EXadL_ZNS_16gelu_fast_kernelIS2_EES3_S5_EELb1ELb0EEEvPS3_PS4_i,comdat
.Lfunc_end73:
	.size	_ZN4vllm17activation_kernelIN3c108BFloat16ETnPFT_RKS3_EXadL_ZNS_16gelu_fast_kernelIS2_EES3_S5_EELb1ELb0EEEvPS3_PS4_i, .Lfunc_end73-_ZN4vllm17activation_kernelIN3c108BFloat16ETnPFT_RKS3_EXadL_ZNS_16gelu_fast_kernelIS2_EES3_S5_EELb1ELb0EEEvPS3_PS4_i
                                        ; -- End function
	.section	.AMDGPU.csdata,"",@progbits
; Kernel info:
; codeLenInByte = 4616
; NumSgprs: 23
; NumVgprs: 39
; NumAgprs: 0
; TotalNumVgprs: 39
; ScratchSize: 0
; MemoryBound: 0
; FloatMode: 240
; IeeeMode: 1
; LDSByteSize: 0 bytes/workgroup (compile time only)
; SGPRBlocks: 2
; VGPRBlocks: 4
; NumSGPRsForWavesPerEU: 23
; NumVGPRsForWavesPerEU: 39
; AccumOffset: 40
; Occupancy: 8
; WaveLimiterHint : 0
; COMPUTE_PGM_RSRC2:SCRATCH_EN: 0
; COMPUTE_PGM_RSRC2:USER_SGPR: 6
; COMPUTE_PGM_RSRC2:TRAP_HANDLER: 0
; COMPUTE_PGM_RSRC2:TGID_X_EN: 1
; COMPUTE_PGM_RSRC2:TGID_Y_EN: 0
; COMPUTE_PGM_RSRC2:TGID_Z_EN: 0
; COMPUTE_PGM_RSRC2:TIDIG_COMP_CNT: 0
; COMPUTE_PGM_RSRC3_GFX90A:ACCUM_OFFSET: 9
; COMPUTE_PGM_RSRC3_GFX90A:TG_SPLIT: 0
	.section	.text._ZN4vllm17activation_kernelIfTnPFT_RKS1_EXadL_ZNS_16gelu_fast_kernelIfEES1_S3_EELb0ELb0EEEvPS1_PS2_i,"axG",@progbits,_ZN4vllm17activation_kernelIfTnPFT_RKS1_EXadL_ZNS_16gelu_fast_kernelIfEES1_S3_EELb0ELb0EEEvPS1_PS2_i,comdat
	.protected	_ZN4vllm17activation_kernelIfTnPFT_RKS1_EXadL_ZNS_16gelu_fast_kernelIfEES1_S3_EELb0ELb0EEEvPS1_PS2_i ; -- Begin function _ZN4vllm17activation_kernelIfTnPFT_RKS1_EXadL_ZNS_16gelu_fast_kernelIfEES1_S3_EELb0ELb0EEEvPS1_PS2_i
	.globl	_ZN4vllm17activation_kernelIfTnPFT_RKS1_EXadL_ZNS_16gelu_fast_kernelIfEES1_S3_EELb0ELb0EEEvPS1_PS2_i
	.p2align	8
	.type	_ZN4vllm17activation_kernelIfTnPFT_RKS1_EXadL_ZNS_16gelu_fast_kernelIfEES1_S3_EELb0ELb0EEEvPS1_PS2_i,@function
_ZN4vllm17activation_kernelIfTnPFT_RKS1_EXadL_ZNS_16gelu_fast_kernelIfEES1_S3_EELb0ELb0EEEvPS1_PS2_i: ; @_ZN4vllm17activation_kernelIfTnPFT_RKS1_EXadL_ZNS_16gelu_fast_kernelIfEES1_S3_EELb0ELb0EEEvPS1_PS2_i
; %bb.0:
	s_load_dword s8, s[4:5], 0x10
	s_waitcnt lgkmcnt(0)
	v_cmp_gt_i32_e32 vcc, s8, v0
	s_and_saveexec_b64 s[0:1], vcc
	s_cbranch_execz .LBB74_7
; %bb.1:
	s_load_dwordx4 s[0:3], s[4:5], 0x0
	s_load_dword s10, s[4:5], 0x24
	s_mul_i32 s6, s6, s8
	s_mov_b32 s7, 0
	v_lshlrev_b32_e32 v2, 2, v0
	s_lshl_b64 s[4:5], s[6:7], 2
	s_waitcnt lgkmcnt(0)
	s_and_b32 s10, s10, 0xffff
	v_mov_b32_e32 v3, s5
	v_add_co_u32_e32 v2, vcc, s4, v2
	s_ashr_i32 s9, s8, 31
	v_mov_b32_e32 v1, 0
	v_addc_co_u32_e32 v3, vcc, 0, v3, vcc
	s_lshl_b32 s11, s10, 2
	s_mov_b64 s[4:5], 0
	v_mov_b32_e32 v4, s3
	s_mov_b32 s3, 0x3f200000
	s_mov_b32 s12, 0x3fb8aa3b
	;; [unrolled: 1-line block ×4, first 2 shown]
	v_mov_b32_e32 v5, 0xbd5c1c4e
	v_mov_b32_e32 v6, 0x3e088382
	;; [unrolled: 1-line block ×3, first 2 shown]
	s_brev_b32 s15, -2
	v_mov_b32_e32 v8, s1
	v_mov_b32_e32 v9, s7
	;; [unrolled: 1-line block ×4, first 2 shown]
	s_branch .LBB74_3
.LBB74_2:                               ;   in Loop: Header=BB74_3 Depth=1
	s_or_b64 exec, exec, s[6:7]
	v_bfi_b32 v13, s15, v14, v13
	v_mul_f32_e32 v12, 0.5, v12
	v_add_f32_e32 v13, 1.0, v13
	v_mul_f32_e32 v14, v12, v13
	v_add_co_u32_e32 v12, vcc, s0, v2
	v_addc_co_u32_e32 v13, vcc, v8, v3, vcc
	v_add_co_u32_e32 v0, vcc, s10, v0
	v_addc_co_u32_e32 v1, vcc, v1, v9, vcc
	v_cmp_le_i64_e32 vcc, s[8:9], v[0:1]
	s_or_b64 s[4:5], vcc, s[4:5]
	v_add_co_u32_e32 v2, vcc, s11, v2
	v_addc_co_u32_e32 v3, vcc, v3, v10, vcc
	global_store_dword v[12:13], v14, off
	s_andn2_b64 exec, exec, s[4:5]
	s_cbranch_execz .LBB74_7
.LBB74_3:                               ; =>This Inner Loop Header: Depth=1
	v_add_co_u32_e32 v12, vcc, s2, v2
	v_addc_co_u32_e32 v13, vcc, v4, v3, vcc
	global_load_dword v12, v[12:13], off
	s_waitcnt vmcnt(0)
	v_mul_f32_e32 v14, 0x3d372713, v12
	v_mul_f32_e32 v13, 0x3f4c422a, v12
	v_fma_f32 v14, v12, v14, 1.0
	v_mul_f32_e32 v13, v13, v14
	v_cmp_nlt_f32_e64 s[6:7], |v13|, s3
                                        ; implicit-def: $vgpr14
	s_and_saveexec_b64 s[16:17], s[6:7]
	s_xor_b64 s[6:7], exec, s[16:17]
	s_cbranch_execz .LBB74_5
; %bb.4:                                ;   in Loop: Header=BB74_3 Depth=1
	v_add_f32_e64 v14, |v13|, |v13|
	v_mul_f32_e32 v15, 0x3fb8aa3b, v14
	v_rndne_f32_e32 v16, v15
	v_sub_f32_e32 v17, v15, v16
	v_fma_f32 v15, v14, s12, -v15
	v_fmac_f32_e32 v15, 0x32a5705f, v14
	v_add_f32_e32 v15, v17, v15
	v_cvt_i32_f32_e32 v16, v16
	v_exp_f32_e32 v15, v15
	v_cmp_ngt_f32_e32 vcc, s13, v14
	v_ldexp_f32 v15, v15, v16
	v_cndmask_b32_e32 v15, 0, v15, vcc
	v_cmp_nlt_f32_e32 vcc, s14, v14
	v_cndmask_b32_e32 v14, v11, v15, vcc
	v_add_f32_e32 v14, 1.0, v14
	v_rcp_f32_e32 v14, v14
	v_fma_f32 v14, v14, -2.0, 1.0
.LBB74_5:                               ;   in Loop: Header=BB74_3 Depth=1
	s_andn2_saveexec_b64 s[6:7], s[6:7]
	s_cbranch_execz .LBB74_2
; %bb.6:                                ;   in Loop: Header=BB74_3 Depth=1
	v_mul_f32_e32 v14, v13, v13
	v_mov_b32_e32 v15, 0x3ca908c9
	v_fmac_f32_e32 v15, 0xbbbac73d, v14
	v_fma_f32 v15, v14, v15, v5
	v_fma_f32 v15, v14, v15, v6
	;; [unrolled: 1-line block ×3, first 2 shown]
	v_mul_f32_e64 v15, |v13|, v15
	v_fma_f32 v14, v14, v15, |v13|
	s_branch .LBB74_2
.LBB74_7:
	s_endpgm
	.section	.rodata,"a",@progbits
	.p2align	6, 0x0
	.amdhsa_kernel _ZN4vllm17activation_kernelIfTnPFT_RKS1_EXadL_ZNS_16gelu_fast_kernelIfEES1_S3_EELb0ELb0EEEvPS1_PS2_i
		.amdhsa_group_segment_fixed_size 0
		.amdhsa_private_segment_fixed_size 0
		.amdhsa_kernarg_size 280
		.amdhsa_user_sgpr_count 6
		.amdhsa_user_sgpr_private_segment_buffer 1
		.amdhsa_user_sgpr_dispatch_ptr 0
		.amdhsa_user_sgpr_queue_ptr 0
		.amdhsa_user_sgpr_kernarg_segment_ptr 1
		.amdhsa_user_sgpr_dispatch_id 0
		.amdhsa_user_sgpr_flat_scratch_init 0
		.amdhsa_user_sgpr_kernarg_preload_length 0
		.amdhsa_user_sgpr_kernarg_preload_offset 0
		.amdhsa_user_sgpr_private_segment_size 0
		.amdhsa_uses_dynamic_stack 0
		.amdhsa_system_sgpr_private_segment_wavefront_offset 0
		.amdhsa_system_sgpr_workgroup_id_x 1
		.amdhsa_system_sgpr_workgroup_id_y 0
		.amdhsa_system_sgpr_workgroup_id_z 0
		.amdhsa_system_sgpr_workgroup_info 0
		.amdhsa_system_vgpr_workitem_id 0
		.amdhsa_next_free_vgpr 18
		.amdhsa_next_free_sgpr 18
		.amdhsa_accum_offset 20
		.amdhsa_reserve_vcc 1
		.amdhsa_reserve_flat_scratch 0
		.amdhsa_float_round_mode_32 0
		.amdhsa_float_round_mode_16_64 0
		.amdhsa_float_denorm_mode_32 3
		.amdhsa_float_denorm_mode_16_64 3
		.amdhsa_dx10_clamp 1
		.amdhsa_ieee_mode 1
		.amdhsa_fp16_overflow 0
		.amdhsa_tg_split 0
		.amdhsa_exception_fp_ieee_invalid_op 0
		.amdhsa_exception_fp_denorm_src 0
		.amdhsa_exception_fp_ieee_div_zero 0
		.amdhsa_exception_fp_ieee_overflow 0
		.amdhsa_exception_fp_ieee_underflow 0
		.amdhsa_exception_fp_ieee_inexact 0
		.amdhsa_exception_int_div_zero 0
	.end_amdhsa_kernel
	.section	.text._ZN4vllm17activation_kernelIfTnPFT_RKS1_EXadL_ZNS_16gelu_fast_kernelIfEES1_S3_EELb0ELb0EEEvPS1_PS2_i,"axG",@progbits,_ZN4vllm17activation_kernelIfTnPFT_RKS1_EXadL_ZNS_16gelu_fast_kernelIfEES1_S3_EELb0ELb0EEEvPS1_PS2_i,comdat
.Lfunc_end74:
	.size	_ZN4vllm17activation_kernelIfTnPFT_RKS1_EXadL_ZNS_16gelu_fast_kernelIfEES1_S3_EELb0ELb0EEEvPS1_PS2_i, .Lfunc_end74-_ZN4vllm17activation_kernelIfTnPFT_RKS1_EXadL_ZNS_16gelu_fast_kernelIfEES1_S3_EELb0ELb0EEEvPS1_PS2_i
                                        ; -- End function
	.section	.AMDGPU.csdata,"",@progbits
; Kernel info:
; codeLenInByte = 492
; NumSgprs: 22
; NumVgprs: 18
; NumAgprs: 0
; TotalNumVgprs: 18
; ScratchSize: 0
; MemoryBound: 0
; FloatMode: 240
; IeeeMode: 1
; LDSByteSize: 0 bytes/workgroup (compile time only)
; SGPRBlocks: 2
; VGPRBlocks: 2
; NumSGPRsForWavesPerEU: 22
; NumVGPRsForWavesPerEU: 18
; AccumOffset: 20
; Occupancy: 8
; WaveLimiterHint : 0
; COMPUTE_PGM_RSRC2:SCRATCH_EN: 0
; COMPUTE_PGM_RSRC2:USER_SGPR: 6
; COMPUTE_PGM_RSRC2:TRAP_HANDLER: 0
; COMPUTE_PGM_RSRC2:TGID_X_EN: 1
; COMPUTE_PGM_RSRC2:TGID_Y_EN: 0
; COMPUTE_PGM_RSRC2:TGID_Z_EN: 0
; COMPUTE_PGM_RSRC2:TIDIG_COMP_CNT: 0
; COMPUTE_PGM_RSRC3_GFX90A:ACCUM_OFFSET: 4
; COMPUTE_PGM_RSRC3_GFX90A:TG_SPLIT: 0
	.section	.text._ZN4vllm17activation_kernelIN3c104HalfETnPFT_RKS3_EXadL_ZNS_16gelu_fast_kernelIS2_EES3_S5_EELb0ELb0EEEvPS3_PS4_i,"axG",@progbits,_ZN4vllm17activation_kernelIN3c104HalfETnPFT_RKS3_EXadL_ZNS_16gelu_fast_kernelIS2_EES3_S5_EELb0ELb0EEEvPS3_PS4_i,comdat
	.protected	_ZN4vllm17activation_kernelIN3c104HalfETnPFT_RKS3_EXadL_ZNS_16gelu_fast_kernelIS2_EES3_S5_EELb0ELb0EEEvPS3_PS4_i ; -- Begin function _ZN4vllm17activation_kernelIN3c104HalfETnPFT_RKS3_EXadL_ZNS_16gelu_fast_kernelIS2_EES3_S5_EELb0ELb0EEEvPS3_PS4_i
	.globl	_ZN4vllm17activation_kernelIN3c104HalfETnPFT_RKS3_EXadL_ZNS_16gelu_fast_kernelIS2_EES3_S5_EELb0ELb0EEEvPS3_PS4_i
	.p2align	8
	.type	_ZN4vllm17activation_kernelIN3c104HalfETnPFT_RKS3_EXadL_ZNS_16gelu_fast_kernelIS2_EES3_S5_EELb0ELb0EEEvPS3_PS4_i,@function
_ZN4vllm17activation_kernelIN3c104HalfETnPFT_RKS3_EXadL_ZNS_16gelu_fast_kernelIS2_EES3_S5_EELb0ELb0EEEvPS3_PS4_i: ; @_ZN4vllm17activation_kernelIN3c104HalfETnPFT_RKS3_EXadL_ZNS_16gelu_fast_kernelIS2_EES3_S5_EELb0ELb0EEEvPS3_PS4_i
; %bb.0:
	s_load_dword s8, s[4:5], 0x10
	s_waitcnt lgkmcnt(0)
	v_cmp_gt_i32_e32 vcc, s8, v0
	s_and_saveexec_b64 s[0:1], vcc
	s_cbranch_execz .LBB75_7
; %bb.1:
	s_load_dwordx4 s[0:3], s[4:5], 0x0
	s_load_dword s10, s[4:5], 0x24
	s_mul_i32 s6, s6, s8
	s_mov_b32 s7, 0
	v_lshlrev_b32_e32 v2, 1, v0
	s_lshl_b64 s[4:5], s[6:7], 1
	s_waitcnt lgkmcnt(0)
	s_and_b32 s10, s10, 0xffff
	v_mov_b32_e32 v3, s5
	v_add_co_u32_e32 v2, vcc, s4, v2
	s_ashr_i32 s9, s8, 31
	v_mov_b32_e32 v1, 0
	v_addc_co_u32_e32 v3, vcc, 0, v3, vcc
	s_lshl_b32 s11, s10, 1
	s_mov_b64 s[4:5], 0
	v_mov_b32_e32 v4, s3
	s_mov_b32 s3, 0x3f4c422a
	s_mov_b32 s12, 0x3d372713
	;; [unrolled: 1-line block ×6, first 2 shown]
	v_mov_b32_e32 v5, 0xbd5c1c4e
	v_mov_b32_e32 v6, 0x3e088382
	;; [unrolled: 1-line block ×3, first 2 shown]
	s_movk_i32 s17, 0x7fff
	v_mov_b32_e32 v8, s1
	v_mov_b32_e32 v9, s7
	;; [unrolled: 1-line block ×4, first 2 shown]
	s_branch .LBB75_3
.LBB75_2:                               ;   in Loop: Header=BB75_3 Depth=1
	s_or_b64 exec, exec, s[6:7]
	v_cvt_f16_f32_e32 v14, v14
	v_lshrrev_b32_e32 v13, 16, v13
	v_mul_f16_e32 v12, 0.5, v12
	v_bfi_b32 v13, s17, v14, v13
	v_add_f16_e32 v13, 1.0, v13
	v_mul_f16_e32 v14, v12, v13
	v_add_co_u32_e32 v12, vcc, s0, v2
	v_addc_co_u32_e32 v13, vcc, v8, v3, vcc
	v_add_co_u32_e32 v0, vcc, s10, v0
	v_addc_co_u32_e32 v1, vcc, v1, v9, vcc
	v_cmp_le_i64_e32 vcc, s[8:9], v[0:1]
	s_or_b64 s[4:5], vcc, s[4:5]
	v_add_co_u32_e32 v2, vcc, s11, v2
	v_addc_co_u32_e32 v3, vcc, v3, v10, vcc
	global_store_short v[12:13], v14, off
	s_andn2_b64 exec, exec, s[4:5]
	s_cbranch_execz .LBB75_7
.LBB75_3:                               ; =>This Inner Loop Header: Depth=1
	v_add_co_u32_e32 v12, vcc, s2, v2
	v_addc_co_u32_e32 v13, vcc, v4, v3, vcc
	global_load_ushort v12, v[12:13], off
	s_waitcnt vmcnt(0)
	v_fma_mixlo_f16 v14, v12, s12, 0 op_sel_hi:[1,0,0]
	v_fma_mixlo_f16 v13, v12, s3, 0 op_sel_hi:[1,0,0]
	v_fma_f16 v14, v12, v14, 1.0
	v_mul_f16_e32 v13, v14, v13
	v_cvt_f32_f16_e32 v13, v13
                                        ; implicit-def: $vgpr14
	v_cmp_nlt_f32_e64 s[6:7], |v13|, s13
	s_and_saveexec_b64 s[18:19], s[6:7]
	s_xor_b64 s[6:7], exec, s[18:19]
	s_cbranch_execz .LBB75_5
; %bb.4:                                ;   in Loop: Header=BB75_3 Depth=1
	v_add_f32_e64 v14, |v13|, |v13|
	v_mul_f32_e32 v15, 0x3fb8aa3b, v14
	v_rndne_f32_e32 v16, v15
	v_sub_f32_e32 v17, v15, v16
	v_fma_f32 v15, v14, s14, -v15
	v_fmac_f32_e32 v15, 0x32a5705f, v14
	v_add_f32_e32 v15, v17, v15
	v_cvt_i32_f32_e32 v16, v16
	v_exp_f32_e32 v15, v15
	v_cmp_ngt_f32_e32 vcc, s15, v14
	v_ldexp_f32 v15, v15, v16
	v_cndmask_b32_e32 v15, 0, v15, vcc
	v_cmp_nlt_f32_e32 vcc, s16, v14
	v_cndmask_b32_e32 v14, v11, v15, vcc
	v_add_f32_e32 v14, 1.0, v14
	v_rcp_f32_e32 v14, v14
	v_fma_f32 v14, v14, -2.0, 1.0
.LBB75_5:                               ;   in Loop: Header=BB75_3 Depth=1
	s_andn2_saveexec_b64 s[6:7], s[6:7]
	s_cbranch_execz .LBB75_2
; %bb.6:                                ;   in Loop: Header=BB75_3 Depth=1
	v_mul_f32_e32 v14, v13, v13
	v_mov_b32_e32 v15, 0x3ca908c9
	v_fmac_f32_e32 v15, 0xbbbac73d, v14
	v_fma_f32 v15, v14, v15, v5
	v_fma_f32 v15, v14, v15, v6
	;; [unrolled: 1-line block ×3, first 2 shown]
	v_mul_f32_e64 v15, |v13|, v15
	v_fma_f32 v14, v14, v15, |v13|
	s_branch .LBB75_2
.LBB75_7:
	s_endpgm
	.section	.rodata,"a",@progbits
	.p2align	6, 0x0
	.amdhsa_kernel _ZN4vllm17activation_kernelIN3c104HalfETnPFT_RKS3_EXadL_ZNS_16gelu_fast_kernelIS2_EES3_S5_EELb0ELb0EEEvPS3_PS4_i
		.amdhsa_group_segment_fixed_size 0
		.amdhsa_private_segment_fixed_size 0
		.amdhsa_kernarg_size 280
		.amdhsa_user_sgpr_count 6
		.amdhsa_user_sgpr_private_segment_buffer 1
		.amdhsa_user_sgpr_dispatch_ptr 0
		.amdhsa_user_sgpr_queue_ptr 0
		.amdhsa_user_sgpr_kernarg_segment_ptr 1
		.amdhsa_user_sgpr_dispatch_id 0
		.amdhsa_user_sgpr_flat_scratch_init 0
		.amdhsa_user_sgpr_kernarg_preload_length 0
		.amdhsa_user_sgpr_kernarg_preload_offset 0
		.amdhsa_user_sgpr_private_segment_size 0
		.amdhsa_uses_dynamic_stack 0
		.amdhsa_system_sgpr_private_segment_wavefront_offset 0
		.amdhsa_system_sgpr_workgroup_id_x 1
		.amdhsa_system_sgpr_workgroup_id_y 0
		.amdhsa_system_sgpr_workgroup_id_z 0
		.amdhsa_system_sgpr_workgroup_info 0
		.amdhsa_system_vgpr_workitem_id 0
		.amdhsa_next_free_vgpr 18
		.amdhsa_next_free_sgpr 20
		.amdhsa_accum_offset 20
		.amdhsa_reserve_vcc 1
		.amdhsa_reserve_flat_scratch 0
		.amdhsa_float_round_mode_32 0
		.amdhsa_float_round_mode_16_64 0
		.amdhsa_float_denorm_mode_32 3
		.amdhsa_float_denorm_mode_16_64 3
		.amdhsa_dx10_clamp 1
		.amdhsa_ieee_mode 1
		.amdhsa_fp16_overflow 0
		.amdhsa_tg_split 0
		.amdhsa_exception_fp_ieee_invalid_op 0
		.amdhsa_exception_fp_denorm_src 0
		.amdhsa_exception_fp_ieee_div_zero 0
		.amdhsa_exception_fp_ieee_overflow 0
		.amdhsa_exception_fp_ieee_underflow 0
		.amdhsa_exception_fp_ieee_inexact 0
		.amdhsa_exception_int_div_zero 0
	.end_amdhsa_kernel
	.section	.text._ZN4vllm17activation_kernelIN3c104HalfETnPFT_RKS3_EXadL_ZNS_16gelu_fast_kernelIS2_EES3_S5_EELb0ELb0EEEvPS3_PS4_i,"axG",@progbits,_ZN4vllm17activation_kernelIN3c104HalfETnPFT_RKS3_EXadL_ZNS_16gelu_fast_kernelIS2_EES3_S5_EELb0ELb0EEEvPS3_PS4_i,comdat
.Lfunc_end75:
	.size	_ZN4vllm17activation_kernelIN3c104HalfETnPFT_RKS3_EXadL_ZNS_16gelu_fast_kernelIS2_EES3_S5_EELb0ELb0EEEvPS3_PS4_i, .Lfunc_end75-_ZN4vllm17activation_kernelIN3c104HalfETnPFT_RKS3_EXadL_ZNS_16gelu_fast_kernelIS2_EES3_S5_EELb0ELb0EEEvPS3_PS4_i
                                        ; -- End function
	.section	.AMDGPU.csdata,"",@progbits
; Kernel info:
; codeLenInByte = 520
; NumSgprs: 24
; NumVgprs: 18
; NumAgprs: 0
; TotalNumVgprs: 18
; ScratchSize: 0
; MemoryBound: 0
; FloatMode: 240
; IeeeMode: 1
; LDSByteSize: 0 bytes/workgroup (compile time only)
; SGPRBlocks: 2
; VGPRBlocks: 2
; NumSGPRsForWavesPerEU: 24
; NumVGPRsForWavesPerEU: 18
; AccumOffset: 20
; Occupancy: 8
; WaveLimiterHint : 0
; COMPUTE_PGM_RSRC2:SCRATCH_EN: 0
; COMPUTE_PGM_RSRC2:USER_SGPR: 6
; COMPUTE_PGM_RSRC2:TRAP_HANDLER: 0
; COMPUTE_PGM_RSRC2:TGID_X_EN: 1
; COMPUTE_PGM_RSRC2:TGID_Y_EN: 0
; COMPUTE_PGM_RSRC2:TGID_Z_EN: 0
; COMPUTE_PGM_RSRC2:TIDIG_COMP_CNT: 0
; COMPUTE_PGM_RSRC3_GFX90A:ACCUM_OFFSET: 4
; COMPUTE_PGM_RSRC3_GFX90A:TG_SPLIT: 0
	.section	.text._ZN4vllm17activation_kernelIN3c108BFloat16ETnPFT_RKS3_EXadL_ZNS_16gelu_fast_kernelIS2_EES3_S5_EELb0ELb0EEEvPS3_PS4_i,"axG",@progbits,_ZN4vllm17activation_kernelIN3c108BFloat16ETnPFT_RKS3_EXadL_ZNS_16gelu_fast_kernelIS2_EES3_S5_EELb0ELb0EEEvPS3_PS4_i,comdat
	.protected	_ZN4vllm17activation_kernelIN3c108BFloat16ETnPFT_RKS3_EXadL_ZNS_16gelu_fast_kernelIS2_EES3_S5_EELb0ELb0EEEvPS3_PS4_i ; -- Begin function _ZN4vllm17activation_kernelIN3c108BFloat16ETnPFT_RKS3_EXadL_ZNS_16gelu_fast_kernelIS2_EES3_S5_EELb0ELb0EEEvPS3_PS4_i
	.globl	_ZN4vllm17activation_kernelIN3c108BFloat16ETnPFT_RKS3_EXadL_ZNS_16gelu_fast_kernelIS2_EES3_S5_EELb0ELb0EEEvPS3_PS4_i
	.p2align	8
	.type	_ZN4vllm17activation_kernelIN3c108BFloat16ETnPFT_RKS3_EXadL_ZNS_16gelu_fast_kernelIS2_EES3_S5_EELb0ELb0EEEvPS3_PS4_i,@function
_ZN4vllm17activation_kernelIN3c108BFloat16ETnPFT_RKS3_EXadL_ZNS_16gelu_fast_kernelIS2_EES3_S5_EELb0ELb0EEEvPS3_PS4_i: ; @_ZN4vllm17activation_kernelIN3c108BFloat16ETnPFT_RKS3_EXadL_ZNS_16gelu_fast_kernelIS2_EES3_S5_EELb0ELb0EEEvPS3_PS4_i
; %bb.0:
	s_load_dword s2, s[4:5], 0x10
	s_waitcnt lgkmcnt(0)
	v_cmp_gt_i32_e32 vcc, s2, v0
	s_and_saveexec_b64 s[0:1], vcc
	s_cbranch_execz .LBB76_7
; %bb.1:
	s_load_dwordx4 s[8:11], s[4:5], 0x0
	s_load_dword s7, s[4:5], 0x24
	s_mul_i32 s0, s6, s2
	s_mov_b32 s1, 0
	v_lshlrev_b32_e32 v2, 1, v0
	s_lshl_b64 s[4:5], s[0:1], 1
	s_waitcnt lgkmcnt(0)
	s_and_b32 s12, s7, 0xffff
	v_mov_b32_e32 v3, s5
	v_add_co_u32_e32 v2, vcc, s4, v2
	s_ashr_i32 s3, s2, 31
	v_mov_b32_e32 v1, 0
	v_addc_co_u32_e32 v3, vcc, 0, v3, vcc
	s_lshl_b32 s13, s12, 1
	s_mov_b64 s[4:5], 0
	v_mov_b32_e32 v4, s11
	s_movk_i32 s11, 0x7fff
	v_mov_b32_e32 v5, 0x7fc00000
	s_mov_b32 s14, 0x3f200000
	s_mov_b32 s15, 0x3fb8aa3b
	;; [unrolled: 1-line block ×4, first 2 shown]
	v_mov_b32_e32 v6, 0xbd5c1c4e
	v_mov_b32_e32 v7, 0x3e088382
	;; [unrolled: 1-line block ×3, first 2 shown]
	s_brev_b32 s18, -2
	v_mov_b32_e32 v9, 0x7fc0
	v_mov_b32_e32 v10, s9
	;; [unrolled: 1-line block ×5, first 2 shown]
	s_branch .LBB76_3
.LBB76_2:                               ;   in Loop: Header=BB76_3 Depth=1
	s_or_b64 exec, exec, s[0:1]
	v_bfi_b32 v15, s18, v16, v15
	v_bfe_u32 v16, v15, 16, 1
	v_add3_u32 v16, v15, v16, s11
	v_and_b32_e32 v16, 0xffff0000, v16
	v_add_f32_e32 v16, 1.0, v16
	v_cmp_o_f32_e32 vcc, v15, v15
	v_cndmask_b32_e32 v15, v5, v16, vcc
	v_mul_f32_e32 v14, 0.5, v14
	v_bfe_u32 v16, v15, 16, 1
	v_bfe_u32 v17, v14, 16, 1
	v_add3_u32 v16, v15, v16, s11
	v_add3_u32 v17, v14, v17, s11
	v_and_b32_e32 v16, 0xffff0000, v16
	v_cmp_o_f32_e32 vcc, v15, v15
	v_and_b32_e32 v17, 0xffff0000, v17
	v_cndmask_b32_e32 v15, v5, v16, vcc
	v_cmp_o_f32_e32 vcc, v14, v14
	v_cndmask_b32_e32 v14, v5, v17, vcc
	v_mul_f32_e32 v14, v14, v15
	v_bfe_u32 v15, v14, 16, 1
	v_add3_u32 v15, v14, v15, s11
	v_lshrrev_b32_e32 v15, 16, v15
	v_cmp_o_f32_e32 vcc, v14, v14
	v_cndmask_b32_e32 v16, v9, v15, vcc
	v_add_co_u32_e32 v14, vcc, s8, v2
	v_addc_co_u32_e32 v15, vcc, v10, v3, vcc
	v_add_co_u32_e32 v0, vcc, s12, v0
	v_addc_co_u32_e32 v1, vcc, v1, v11, vcc
	v_cmp_le_i64_e32 vcc, s[2:3], v[0:1]
	s_or_b64 s[4:5], vcc, s[4:5]
	v_add_co_u32_e32 v2, vcc, s13, v2
	v_addc_co_u32_e32 v3, vcc, v3, v12, vcc
	global_store_short v[14:15], v16, off
	s_andn2_b64 exec, exec, s[4:5]
	s_cbranch_execz .LBB76_7
.LBB76_3:                               ; =>This Inner Loop Header: Depth=1
	v_add_co_u32_e32 v14, vcc, s10, v2
	v_addc_co_u32_e32 v15, vcc, v4, v3, vcc
	global_load_ushort v14, v[14:15], off
	s_waitcnt vmcnt(0)
	v_lshlrev_b32_e32 v14, 16, v14
	v_mul_f32_e32 v16, 0x3d372713, v14
	v_bfe_u32 v17, v16, 16, 1
	v_add3_u32 v17, v16, v17, s11
	v_and_b32_e32 v17, 0xffff0000, v17
	v_cmp_o_f32_e32 vcc, v16, v16
	v_cndmask_b32_e32 v16, v5, v17, vcc
	v_mul_f32_e32 v15, 0x3f4c422a, v14
	v_mul_f32_e32 v16, v16, v14
	v_bfe_u32 v18, v15, 16, 1
	v_bfe_u32 v17, v16, 16, 1
	v_add3_u32 v18, v15, v18, s11
	v_add3_u32 v17, v16, v17, s11
	v_and_b32_e32 v18, 0xffff0000, v18
	v_cmp_o_f32_e32 vcc, v15, v15
	v_and_b32_e32 v17, 0xffff0000, v17
	v_cndmask_b32_e32 v15, v5, v18, vcc
	v_add_f32_e32 v17, 1.0, v17
	v_cmp_o_f32_e32 vcc, v16, v16
	v_cndmask_b32_e32 v16, v5, v17, vcc
	v_bfe_u32 v17, v16, 16, 1
	v_add3_u32 v17, v16, v17, s11
	v_and_b32_e32 v17, 0xffff0000, v17
	v_cmp_o_f32_e32 vcc, v16, v16
	v_cndmask_b32_e32 v16, v5, v17, vcc
	v_mul_f32_e32 v16, v15, v16
	v_bfe_u32 v15, v16, 16, 1
	v_add3_u32 v15, v16, v15, s11
	v_and_b32_e32 v15, 0xffff0000, v15
	v_cmp_u_f32_e32 vcc, v16, v16
	v_cndmask_b32_e64 v16, |v15|, v5, vcc
	v_cmp_ngt_f32_e64 s[0:1], s14, v16
	s_and_saveexec_b64 s[6:7], s[0:1]
	s_xor_b64 s[6:7], exec, s[6:7]
	s_cbranch_execz .LBB76_5
; %bb.4:                                ;   in Loop: Header=BB76_3 Depth=1
	v_add_f32_e32 v16, v16, v16
	v_mul_f32_e32 v17, 0x3fb8aa3b, v16
	v_rndne_f32_e32 v18, v17
	v_sub_f32_e32 v19, v17, v18
	v_fma_f32 v17, v16, s15, -v17
	v_fmac_f32_e32 v17, 0x32a5705f, v16
	v_add_f32_e32 v17, v19, v17
	v_cvt_i32_f32_e32 v18, v18
	v_exp_f32_e32 v17, v17
	v_cmp_ngt_f32_e64 s[0:1], s16, v16
	v_ldexp_f32 v17, v17, v18
	v_cndmask_b32_e64 v17, 0, v17, s[0:1]
	v_cmp_nlt_f32_e64 s[0:1], s17, v16
	v_cndmask_b32_e64 v16, v13, v17, s[0:1]
	v_add_f32_e32 v16, 1.0, v16
	v_rcp_f32_e32 v16, v16
	v_fma_f32 v16, v16, -2.0, 1.0
.LBB76_5:                               ;   in Loop: Header=BB76_3 Depth=1
	s_or_saveexec_b64 s[0:1], s[6:7]
	v_cndmask_b32_e32 v15, v15, v5, vcc
	s_xor_b64 exec, exec, s[0:1]
	s_cbranch_execz .LBB76_2
; %bb.6:                                ;   in Loop: Header=BB76_3 Depth=1
	v_mul_f32_e32 v17, v15, v15
	v_mov_b32_e32 v18, 0x3ca908c9
	v_fmac_f32_e32 v18, 0xbbbac73d, v17
	v_fma_f32 v18, v17, v18, v6
	v_fma_f32 v18, v17, v18, v7
	;; [unrolled: 1-line block ×3, first 2 shown]
	v_mul_f32_e32 v18, v16, v18
	v_fmac_f32_e32 v16, v17, v18
	s_branch .LBB76_2
.LBB76_7:
	s_endpgm
	.section	.rodata,"a",@progbits
	.p2align	6, 0x0
	.amdhsa_kernel _ZN4vllm17activation_kernelIN3c108BFloat16ETnPFT_RKS3_EXadL_ZNS_16gelu_fast_kernelIS2_EES3_S5_EELb0ELb0EEEvPS3_PS4_i
		.amdhsa_group_segment_fixed_size 0
		.amdhsa_private_segment_fixed_size 0
		.amdhsa_kernarg_size 280
		.amdhsa_user_sgpr_count 6
		.amdhsa_user_sgpr_private_segment_buffer 1
		.amdhsa_user_sgpr_dispatch_ptr 0
		.amdhsa_user_sgpr_queue_ptr 0
		.amdhsa_user_sgpr_kernarg_segment_ptr 1
		.amdhsa_user_sgpr_dispatch_id 0
		.amdhsa_user_sgpr_flat_scratch_init 0
		.amdhsa_user_sgpr_kernarg_preload_length 0
		.amdhsa_user_sgpr_kernarg_preload_offset 0
		.amdhsa_user_sgpr_private_segment_size 0
		.amdhsa_uses_dynamic_stack 0
		.amdhsa_system_sgpr_private_segment_wavefront_offset 0
		.amdhsa_system_sgpr_workgroup_id_x 1
		.amdhsa_system_sgpr_workgroup_id_y 0
		.amdhsa_system_sgpr_workgroup_id_z 0
		.amdhsa_system_sgpr_workgroup_info 0
		.amdhsa_system_vgpr_workitem_id 0
		.amdhsa_next_free_vgpr 20
		.amdhsa_next_free_sgpr 19
		.amdhsa_accum_offset 20
		.amdhsa_reserve_vcc 1
		.amdhsa_reserve_flat_scratch 0
		.amdhsa_float_round_mode_32 0
		.amdhsa_float_round_mode_16_64 0
		.amdhsa_float_denorm_mode_32 3
		.amdhsa_float_denorm_mode_16_64 3
		.amdhsa_dx10_clamp 1
		.amdhsa_ieee_mode 1
		.amdhsa_fp16_overflow 0
		.amdhsa_tg_split 0
		.amdhsa_exception_fp_ieee_invalid_op 0
		.amdhsa_exception_fp_denorm_src 0
		.amdhsa_exception_fp_ieee_div_zero 0
		.amdhsa_exception_fp_ieee_overflow 0
		.amdhsa_exception_fp_ieee_underflow 0
		.amdhsa_exception_fp_ieee_inexact 0
		.amdhsa_exception_int_div_zero 0
	.end_amdhsa_kernel
	.section	.text._ZN4vllm17activation_kernelIN3c108BFloat16ETnPFT_RKS3_EXadL_ZNS_16gelu_fast_kernelIS2_EES3_S5_EELb0ELb0EEEvPS3_PS4_i,"axG",@progbits,_ZN4vllm17activation_kernelIN3c108BFloat16ETnPFT_RKS3_EXadL_ZNS_16gelu_fast_kernelIS2_EES3_S5_EELb0ELb0EEEvPS3_PS4_i,comdat
.Lfunc_end76:
	.size	_ZN4vllm17activation_kernelIN3c108BFloat16ETnPFT_RKS3_EXadL_ZNS_16gelu_fast_kernelIS2_EES3_S5_EELb0ELb0EEEvPS3_PS4_i, .Lfunc_end76-_ZN4vllm17activation_kernelIN3c108BFloat16ETnPFT_RKS3_EXadL_ZNS_16gelu_fast_kernelIS2_EES3_S5_EELb0ELb0EEEvPS3_PS4_i
                                        ; -- End function
	.section	.AMDGPU.csdata,"",@progbits
; Kernel info:
; codeLenInByte = 816
; NumSgprs: 23
; NumVgprs: 20
; NumAgprs: 0
; TotalNumVgprs: 20
; ScratchSize: 0
; MemoryBound: 0
; FloatMode: 240
; IeeeMode: 1
; LDSByteSize: 0 bytes/workgroup (compile time only)
; SGPRBlocks: 2
; VGPRBlocks: 2
; NumSGPRsForWavesPerEU: 23
; NumVGPRsForWavesPerEU: 20
; AccumOffset: 20
; Occupancy: 8
; WaveLimiterHint : 0
; COMPUTE_PGM_RSRC2:SCRATCH_EN: 0
; COMPUTE_PGM_RSRC2:USER_SGPR: 6
; COMPUTE_PGM_RSRC2:TRAP_HANDLER: 0
; COMPUTE_PGM_RSRC2:TGID_X_EN: 1
; COMPUTE_PGM_RSRC2:TGID_Y_EN: 0
; COMPUTE_PGM_RSRC2:TGID_Z_EN: 0
; COMPUTE_PGM_RSRC2:TIDIG_COMP_CNT: 0
; COMPUTE_PGM_RSRC3_GFX90A:ACCUM_OFFSET: 4
; COMPUTE_PGM_RSRC3_GFX90A:TG_SPLIT: 0
	.section	.text._ZN4vllm17activation_kernelIfTnPFT_RKS1_EXadL_ZNS_17gelu_quick_kernelIfEES1_S3_EELb1ELb1EEEvPS1_PS2_i,"axG",@progbits,_ZN4vllm17activation_kernelIfTnPFT_RKS1_EXadL_ZNS_17gelu_quick_kernelIfEES1_S3_EELb1ELb1EEEvPS1_PS2_i,comdat
	.protected	_ZN4vllm17activation_kernelIfTnPFT_RKS1_EXadL_ZNS_17gelu_quick_kernelIfEES1_S3_EELb1ELb1EEEvPS1_PS2_i ; -- Begin function _ZN4vllm17activation_kernelIfTnPFT_RKS1_EXadL_ZNS_17gelu_quick_kernelIfEES1_S3_EELb1ELb1EEEvPS1_PS2_i
	.globl	_ZN4vllm17activation_kernelIfTnPFT_RKS1_EXadL_ZNS_17gelu_quick_kernelIfEES1_S3_EELb1ELb1EEEvPS1_PS2_i
	.p2align	8
	.type	_ZN4vllm17activation_kernelIfTnPFT_RKS1_EXadL_ZNS_17gelu_quick_kernelIfEES1_S3_EELb1ELb1EEEvPS1_PS2_i,@function
_ZN4vllm17activation_kernelIfTnPFT_RKS1_EXadL_ZNS_17gelu_quick_kernelIfEES1_S3_EELb1ELb1EEEvPS1_PS2_i: ; @_ZN4vllm17activation_kernelIfTnPFT_RKS1_EXadL_ZNS_17gelu_quick_kernelIfEES1_S3_EELb1ELb1EEEvPS1_PS2_i
; %bb.0:
	s_add_u32 flat_scratch_lo, s6, s9
	s_load_dword s6, s[4:5], 0x10
	s_addc_u32 flat_scratch_hi, s7, 0
	s_add_u32 s0, s0, s9
	s_addc_u32 s1, s1, 0
	s_mov_b32 s32, 0
	s_waitcnt lgkmcnt(0)
	s_ashr_i32 s7, s6, 31
	s_lshr_b32 s7, s7, 29
	s_add_i32 s6, s6, s7
	s_ashr_i32 s6, s6, 3
	v_cmp_gt_i32_e32 vcc, s6, v0
	s_and_saveexec_b64 s[6:7], vcc
	s_cbranch_execz .LBB77_2
; %bb.1:
	s_add_u32 s8, s4, 24
	s_addc_u32 s9, s5, 0
	s_getpc_b64 s[4:5]
	s_add_u32 s4, s4, .str@rel32@lo+4
	s_addc_u32 s5, s5, .str@rel32@hi+12
	s_getpc_b64 s[6:7]
	s_add_u32 s6, s6, __PRETTY_FUNCTION__._ZN4vllm5ld256ERNS_7u32x8_tEPKS0_@rel32@lo+4
	s_addc_u32 s7, s7, __PRETTY_FUNCTION__._ZN4vllm5ld256ERNS_7u32x8_tEPKS0_@rel32@hi+12
	v_mov_b32_e32 v0, s4
	v_mov_b32_e32 v1, s5
	;; [unrolled: 1-line block ×5, first 2 shown]
	s_getpc_b64 s[10:11]
	s_add_u32 s10, s10, __assert_fail@rel32@lo+4
	s_addc_u32 s11, s11, __assert_fail@rel32@hi+12
	s_swappc_b64 s[30:31], s[10:11]
	; divergent unreachable
.LBB77_2:
	s_endpgm
	.section	.rodata,"a",@progbits
	.p2align	6, 0x0
	.amdhsa_kernel _ZN4vllm17activation_kernelIfTnPFT_RKS1_EXadL_ZNS_17gelu_quick_kernelIfEES1_S3_EELb1ELb1EEEvPS1_PS2_i
		.amdhsa_group_segment_fixed_size 0
		.amdhsa_private_segment_fixed_size 64
		.amdhsa_kernarg_size 280
		.amdhsa_user_sgpr_count 8
		.amdhsa_user_sgpr_private_segment_buffer 1
		.amdhsa_user_sgpr_dispatch_ptr 0
		.amdhsa_user_sgpr_queue_ptr 0
		.amdhsa_user_sgpr_kernarg_segment_ptr 1
		.amdhsa_user_sgpr_dispatch_id 0
		.amdhsa_user_sgpr_flat_scratch_init 1
		.amdhsa_user_sgpr_kernarg_preload_length 0
		.amdhsa_user_sgpr_kernarg_preload_offset 0
		.amdhsa_user_sgpr_private_segment_size 0
		.amdhsa_uses_dynamic_stack 0
		.amdhsa_system_sgpr_private_segment_wavefront_offset 1
		.amdhsa_system_sgpr_workgroup_id_x 1
		.amdhsa_system_sgpr_workgroup_id_y 0
		.amdhsa_system_sgpr_workgroup_id_z 0
		.amdhsa_system_sgpr_workgroup_info 0
		.amdhsa_system_vgpr_workitem_id 0
		.amdhsa_next_free_vgpr 51
		.amdhsa_next_free_sgpr 34
		.amdhsa_accum_offset 52
		.amdhsa_reserve_vcc 1
		.amdhsa_reserve_flat_scratch 1
		.amdhsa_float_round_mode_32 0
		.amdhsa_float_round_mode_16_64 0
		.amdhsa_float_denorm_mode_32 3
		.amdhsa_float_denorm_mode_16_64 3
		.amdhsa_dx10_clamp 1
		.amdhsa_ieee_mode 1
		.amdhsa_fp16_overflow 0
		.amdhsa_tg_split 0
		.amdhsa_exception_fp_ieee_invalid_op 0
		.amdhsa_exception_fp_denorm_src 0
		.amdhsa_exception_fp_ieee_div_zero 0
		.amdhsa_exception_fp_ieee_overflow 0
		.amdhsa_exception_fp_ieee_underflow 0
		.amdhsa_exception_fp_ieee_inexact 0
		.amdhsa_exception_int_div_zero 0
	.end_amdhsa_kernel
	.section	.text._ZN4vllm17activation_kernelIfTnPFT_RKS1_EXadL_ZNS_17gelu_quick_kernelIfEES1_S3_EELb1ELb1EEEvPS1_PS2_i,"axG",@progbits,_ZN4vllm17activation_kernelIfTnPFT_RKS1_EXadL_ZNS_17gelu_quick_kernelIfEES1_S3_EELb1ELb1EEEvPS1_PS2_i,comdat
.Lfunc_end77:
	.size	_ZN4vllm17activation_kernelIfTnPFT_RKS1_EXadL_ZNS_17gelu_quick_kernelIfEES1_S3_EELb1ELb1EEEvPS1_PS2_i, .Lfunc_end77-_ZN4vllm17activation_kernelIfTnPFT_RKS1_EXadL_ZNS_17gelu_quick_kernelIfEES1_S3_EELb1ELb1EEEvPS1_PS2_i
                                        ; -- End function
	.section	.AMDGPU.csdata,"",@progbits
; Kernel info:
; codeLenInByte = 160
; NumSgprs: 40
; NumVgprs: 51
; NumAgprs: 0
; TotalNumVgprs: 51
; ScratchSize: 64
; MemoryBound: 0
; FloatMode: 240
; IeeeMode: 1
; LDSByteSize: 0 bytes/workgroup (compile time only)
; SGPRBlocks: 4
; VGPRBlocks: 6
; NumSGPRsForWavesPerEU: 40
; NumVGPRsForWavesPerEU: 51
; AccumOffset: 52
; Occupancy: 8
; WaveLimiterHint : 1
; COMPUTE_PGM_RSRC2:SCRATCH_EN: 1
; COMPUTE_PGM_RSRC2:USER_SGPR: 8
; COMPUTE_PGM_RSRC2:TRAP_HANDLER: 0
; COMPUTE_PGM_RSRC2:TGID_X_EN: 1
; COMPUTE_PGM_RSRC2:TGID_Y_EN: 0
; COMPUTE_PGM_RSRC2:TGID_Z_EN: 0
; COMPUTE_PGM_RSRC2:TIDIG_COMP_CNT: 0
; COMPUTE_PGM_RSRC3_GFX90A:ACCUM_OFFSET: 12
; COMPUTE_PGM_RSRC3_GFX90A:TG_SPLIT: 0
	.section	.text._ZN4vllm17activation_kernelIN3c104HalfETnPFT_RKS3_EXadL_ZNS_17gelu_quick_kernelIS2_EES3_S5_EELb1ELb1EEEvPS3_PS4_i,"axG",@progbits,_ZN4vllm17activation_kernelIN3c104HalfETnPFT_RKS3_EXadL_ZNS_17gelu_quick_kernelIS2_EES3_S5_EELb1ELb1EEEvPS3_PS4_i,comdat
	.protected	_ZN4vllm17activation_kernelIN3c104HalfETnPFT_RKS3_EXadL_ZNS_17gelu_quick_kernelIS2_EES3_S5_EELb1ELb1EEEvPS3_PS4_i ; -- Begin function _ZN4vllm17activation_kernelIN3c104HalfETnPFT_RKS3_EXadL_ZNS_17gelu_quick_kernelIS2_EES3_S5_EELb1ELb1EEEvPS3_PS4_i
	.globl	_ZN4vllm17activation_kernelIN3c104HalfETnPFT_RKS3_EXadL_ZNS_17gelu_quick_kernelIS2_EES3_S5_EELb1ELb1EEEvPS3_PS4_i
	.p2align	8
	.type	_ZN4vllm17activation_kernelIN3c104HalfETnPFT_RKS3_EXadL_ZNS_17gelu_quick_kernelIS2_EES3_S5_EELb1ELb1EEEvPS3_PS4_i,@function
_ZN4vllm17activation_kernelIN3c104HalfETnPFT_RKS3_EXadL_ZNS_17gelu_quick_kernelIS2_EES3_S5_EELb1ELb1EEEvPS3_PS4_i: ; @_ZN4vllm17activation_kernelIN3c104HalfETnPFT_RKS3_EXadL_ZNS_17gelu_quick_kernelIS2_EES3_S5_EELb1ELb1EEEvPS3_PS4_i
; %bb.0:
	s_add_u32 flat_scratch_lo, s6, s9
	s_load_dword s6, s[4:5], 0x10
	s_addc_u32 flat_scratch_hi, s7, 0
	s_add_u32 s0, s0, s9
	s_addc_u32 s1, s1, 0
	s_mov_b32 s32, 0
	s_waitcnt lgkmcnt(0)
	s_ashr_i32 s7, s6, 31
	s_lshr_b32 s7, s7, 28
	s_add_i32 s6, s6, s7
	s_ashr_i32 s6, s6, 4
	v_cmp_gt_i32_e32 vcc, s6, v0
	s_and_saveexec_b64 s[6:7], vcc
	s_cbranch_execz .LBB78_2
; %bb.1:
	s_add_u32 s8, s4, 24
	s_addc_u32 s9, s5, 0
	s_getpc_b64 s[4:5]
	s_add_u32 s4, s4, .str@rel32@lo+4
	s_addc_u32 s5, s5, .str@rel32@hi+12
	s_getpc_b64 s[6:7]
	s_add_u32 s6, s6, __PRETTY_FUNCTION__._ZN4vllm5ld256ERNS_7u32x8_tEPKS0_@rel32@lo+4
	s_addc_u32 s7, s7, __PRETTY_FUNCTION__._ZN4vllm5ld256ERNS_7u32x8_tEPKS0_@rel32@hi+12
	v_mov_b32_e32 v0, s4
	v_mov_b32_e32 v1, s5
	;; [unrolled: 1-line block ×5, first 2 shown]
	s_getpc_b64 s[10:11]
	s_add_u32 s10, s10, __assert_fail@rel32@lo+4
	s_addc_u32 s11, s11, __assert_fail@rel32@hi+12
	s_swappc_b64 s[30:31], s[10:11]
	; divergent unreachable
.LBB78_2:
	s_endpgm
	.section	.rodata,"a",@progbits
	.p2align	6, 0x0
	.amdhsa_kernel _ZN4vllm17activation_kernelIN3c104HalfETnPFT_RKS3_EXadL_ZNS_17gelu_quick_kernelIS2_EES3_S5_EELb1ELb1EEEvPS3_PS4_i
		.amdhsa_group_segment_fixed_size 0
		.amdhsa_private_segment_fixed_size 64
		.amdhsa_kernarg_size 280
		.amdhsa_user_sgpr_count 8
		.amdhsa_user_sgpr_private_segment_buffer 1
		.amdhsa_user_sgpr_dispatch_ptr 0
		.amdhsa_user_sgpr_queue_ptr 0
		.amdhsa_user_sgpr_kernarg_segment_ptr 1
		.amdhsa_user_sgpr_dispatch_id 0
		.amdhsa_user_sgpr_flat_scratch_init 1
		.amdhsa_user_sgpr_kernarg_preload_length 0
		.amdhsa_user_sgpr_kernarg_preload_offset 0
		.amdhsa_user_sgpr_private_segment_size 0
		.amdhsa_uses_dynamic_stack 0
		.amdhsa_system_sgpr_private_segment_wavefront_offset 1
		.amdhsa_system_sgpr_workgroup_id_x 1
		.amdhsa_system_sgpr_workgroup_id_y 0
		.amdhsa_system_sgpr_workgroup_id_z 0
		.amdhsa_system_sgpr_workgroup_info 0
		.amdhsa_system_vgpr_workitem_id 0
		.amdhsa_next_free_vgpr 51
		.amdhsa_next_free_sgpr 34
		.amdhsa_accum_offset 52
		.amdhsa_reserve_vcc 1
		.amdhsa_reserve_flat_scratch 1
		.amdhsa_float_round_mode_32 0
		.amdhsa_float_round_mode_16_64 0
		.amdhsa_float_denorm_mode_32 3
		.amdhsa_float_denorm_mode_16_64 3
		.amdhsa_dx10_clamp 1
		.amdhsa_ieee_mode 1
		.amdhsa_fp16_overflow 0
		.amdhsa_tg_split 0
		.amdhsa_exception_fp_ieee_invalid_op 0
		.amdhsa_exception_fp_denorm_src 0
		.amdhsa_exception_fp_ieee_div_zero 0
		.amdhsa_exception_fp_ieee_overflow 0
		.amdhsa_exception_fp_ieee_underflow 0
		.amdhsa_exception_fp_ieee_inexact 0
		.amdhsa_exception_int_div_zero 0
	.end_amdhsa_kernel
	.section	.text._ZN4vllm17activation_kernelIN3c104HalfETnPFT_RKS3_EXadL_ZNS_17gelu_quick_kernelIS2_EES3_S5_EELb1ELb1EEEvPS3_PS4_i,"axG",@progbits,_ZN4vllm17activation_kernelIN3c104HalfETnPFT_RKS3_EXadL_ZNS_17gelu_quick_kernelIS2_EES3_S5_EELb1ELb1EEEvPS3_PS4_i,comdat
.Lfunc_end78:
	.size	_ZN4vllm17activation_kernelIN3c104HalfETnPFT_RKS3_EXadL_ZNS_17gelu_quick_kernelIS2_EES3_S5_EELb1ELb1EEEvPS3_PS4_i, .Lfunc_end78-_ZN4vllm17activation_kernelIN3c104HalfETnPFT_RKS3_EXadL_ZNS_17gelu_quick_kernelIS2_EES3_S5_EELb1ELb1EEEvPS3_PS4_i
                                        ; -- End function
	.section	.AMDGPU.csdata,"",@progbits
; Kernel info:
; codeLenInByte = 160
; NumSgprs: 40
; NumVgprs: 51
; NumAgprs: 0
; TotalNumVgprs: 51
; ScratchSize: 64
; MemoryBound: 0
; FloatMode: 240
; IeeeMode: 1
; LDSByteSize: 0 bytes/workgroup (compile time only)
; SGPRBlocks: 4
; VGPRBlocks: 6
; NumSGPRsForWavesPerEU: 40
; NumVGPRsForWavesPerEU: 51
; AccumOffset: 52
; Occupancy: 8
; WaveLimiterHint : 1
; COMPUTE_PGM_RSRC2:SCRATCH_EN: 1
; COMPUTE_PGM_RSRC2:USER_SGPR: 8
; COMPUTE_PGM_RSRC2:TRAP_HANDLER: 0
; COMPUTE_PGM_RSRC2:TGID_X_EN: 1
; COMPUTE_PGM_RSRC2:TGID_Y_EN: 0
; COMPUTE_PGM_RSRC2:TGID_Z_EN: 0
; COMPUTE_PGM_RSRC2:TIDIG_COMP_CNT: 0
; COMPUTE_PGM_RSRC3_GFX90A:ACCUM_OFFSET: 12
; COMPUTE_PGM_RSRC3_GFX90A:TG_SPLIT: 0
	.section	.text._ZN4vllm17activation_kernelIN3c108BFloat16ETnPFT_RKS3_EXadL_ZNS_17gelu_quick_kernelIS2_EES3_S5_EELb1ELb1EEEvPS3_PS4_i,"axG",@progbits,_ZN4vllm17activation_kernelIN3c108BFloat16ETnPFT_RKS3_EXadL_ZNS_17gelu_quick_kernelIS2_EES3_S5_EELb1ELb1EEEvPS3_PS4_i,comdat
	.protected	_ZN4vllm17activation_kernelIN3c108BFloat16ETnPFT_RKS3_EXadL_ZNS_17gelu_quick_kernelIS2_EES3_S5_EELb1ELb1EEEvPS3_PS4_i ; -- Begin function _ZN4vllm17activation_kernelIN3c108BFloat16ETnPFT_RKS3_EXadL_ZNS_17gelu_quick_kernelIS2_EES3_S5_EELb1ELb1EEEvPS3_PS4_i
	.globl	_ZN4vllm17activation_kernelIN3c108BFloat16ETnPFT_RKS3_EXadL_ZNS_17gelu_quick_kernelIS2_EES3_S5_EELb1ELb1EEEvPS3_PS4_i
	.p2align	8
	.type	_ZN4vllm17activation_kernelIN3c108BFloat16ETnPFT_RKS3_EXadL_ZNS_17gelu_quick_kernelIS2_EES3_S5_EELb1ELb1EEEvPS3_PS4_i,@function
_ZN4vllm17activation_kernelIN3c108BFloat16ETnPFT_RKS3_EXadL_ZNS_17gelu_quick_kernelIS2_EES3_S5_EELb1ELb1EEEvPS3_PS4_i: ; @_ZN4vllm17activation_kernelIN3c108BFloat16ETnPFT_RKS3_EXadL_ZNS_17gelu_quick_kernelIS2_EES3_S5_EELb1ELb1EEEvPS3_PS4_i
; %bb.0:
	s_add_u32 flat_scratch_lo, s6, s9
	s_load_dword s6, s[4:5], 0x10
	s_addc_u32 flat_scratch_hi, s7, 0
	s_add_u32 s0, s0, s9
	s_addc_u32 s1, s1, 0
	s_mov_b32 s32, 0
	s_waitcnt lgkmcnt(0)
	s_ashr_i32 s7, s6, 31
	s_lshr_b32 s7, s7, 28
	s_add_i32 s6, s6, s7
	s_ashr_i32 s6, s6, 4
	v_cmp_gt_i32_e32 vcc, s6, v0
	s_and_saveexec_b64 s[6:7], vcc
	s_cbranch_execz .LBB79_2
; %bb.1:
	s_add_u32 s8, s4, 24
	s_addc_u32 s9, s5, 0
	s_getpc_b64 s[4:5]
	s_add_u32 s4, s4, .str@rel32@lo+4
	s_addc_u32 s5, s5, .str@rel32@hi+12
	s_getpc_b64 s[6:7]
	s_add_u32 s6, s6, __PRETTY_FUNCTION__._ZN4vllm5ld256ERNS_7u32x8_tEPKS0_@rel32@lo+4
	s_addc_u32 s7, s7, __PRETTY_FUNCTION__._ZN4vllm5ld256ERNS_7u32x8_tEPKS0_@rel32@hi+12
	v_mov_b32_e32 v0, s4
	v_mov_b32_e32 v1, s5
	;; [unrolled: 1-line block ×5, first 2 shown]
	s_getpc_b64 s[10:11]
	s_add_u32 s10, s10, __assert_fail@rel32@lo+4
	s_addc_u32 s11, s11, __assert_fail@rel32@hi+12
	s_swappc_b64 s[30:31], s[10:11]
	; divergent unreachable
.LBB79_2:
	s_endpgm
	.section	.rodata,"a",@progbits
	.p2align	6, 0x0
	.amdhsa_kernel _ZN4vllm17activation_kernelIN3c108BFloat16ETnPFT_RKS3_EXadL_ZNS_17gelu_quick_kernelIS2_EES3_S5_EELb1ELb1EEEvPS3_PS4_i
		.amdhsa_group_segment_fixed_size 0
		.amdhsa_private_segment_fixed_size 64
		.amdhsa_kernarg_size 280
		.amdhsa_user_sgpr_count 8
		.amdhsa_user_sgpr_private_segment_buffer 1
		.amdhsa_user_sgpr_dispatch_ptr 0
		.amdhsa_user_sgpr_queue_ptr 0
		.amdhsa_user_sgpr_kernarg_segment_ptr 1
		.amdhsa_user_sgpr_dispatch_id 0
		.amdhsa_user_sgpr_flat_scratch_init 1
		.amdhsa_user_sgpr_kernarg_preload_length 0
		.amdhsa_user_sgpr_kernarg_preload_offset 0
		.amdhsa_user_sgpr_private_segment_size 0
		.amdhsa_uses_dynamic_stack 0
		.amdhsa_system_sgpr_private_segment_wavefront_offset 1
		.amdhsa_system_sgpr_workgroup_id_x 1
		.amdhsa_system_sgpr_workgroup_id_y 0
		.amdhsa_system_sgpr_workgroup_id_z 0
		.amdhsa_system_sgpr_workgroup_info 0
		.amdhsa_system_vgpr_workitem_id 0
		.amdhsa_next_free_vgpr 51
		.amdhsa_next_free_sgpr 34
		.amdhsa_accum_offset 52
		.amdhsa_reserve_vcc 1
		.amdhsa_reserve_flat_scratch 1
		.amdhsa_float_round_mode_32 0
		.amdhsa_float_round_mode_16_64 0
		.amdhsa_float_denorm_mode_32 3
		.amdhsa_float_denorm_mode_16_64 3
		.amdhsa_dx10_clamp 1
		.amdhsa_ieee_mode 1
		.amdhsa_fp16_overflow 0
		.amdhsa_tg_split 0
		.amdhsa_exception_fp_ieee_invalid_op 0
		.amdhsa_exception_fp_denorm_src 0
		.amdhsa_exception_fp_ieee_div_zero 0
		.amdhsa_exception_fp_ieee_overflow 0
		.amdhsa_exception_fp_ieee_underflow 0
		.amdhsa_exception_fp_ieee_inexact 0
		.amdhsa_exception_int_div_zero 0
	.end_amdhsa_kernel
	.section	.text._ZN4vllm17activation_kernelIN3c108BFloat16ETnPFT_RKS3_EXadL_ZNS_17gelu_quick_kernelIS2_EES3_S5_EELb1ELb1EEEvPS3_PS4_i,"axG",@progbits,_ZN4vllm17activation_kernelIN3c108BFloat16ETnPFT_RKS3_EXadL_ZNS_17gelu_quick_kernelIS2_EES3_S5_EELb1ELb1EEEvPS3_PS4_i,comdat
.Lfunc_end79:
	.size	_ZN4vllm17activation_kernelIN3c108BFloat16ETnPFT_RKS3_EXadL_ZNS_17gelu_quick_kernelIS2_EES3_S5_EELb1ELb1EEEvPS3_PS4_i, .Lfunc_end79-_ZN4vllm17activation_kernelIN3c108BFloat16ETnPFT_RKS3_EXadL_ZNS_17gelu_quick_kernelIS2_EES3_S5_EELb1ELb1EEEvPS3_PS4_i
                                        ; -- End function
	.section	.AMDGPU.csdata,"",@progbits
; Kernel info:
; codeLenInByte = 160
; NumSgprs: 40
; NumVgprs: 51
; NumAgprs: 0
; TotalNumVgprs: 51
; ScratchSize: 64
; MemoryBound: 0
; FloatMode: 240
; IeeeMode: 1
; LDSByteSize: 0 bytes/workgroup (compile time only)
; SGPRBlocks: 4
; VGPRBlocks: 6
; NumSGPRsForWavesPerEU: 40
; NumVGPRsForWavesPerEU: 51
; AccumOffset: 52
; Occupancy: 8
; WaveLimiterHint : 1
; COMPUTE_PGM_RSRC2:SCRATCH_EN: 1
; COMPUTE_PGM_RSRC2:USER_SGPR: 8
; COMPUTE_PGM_RSRC2:TRAP_HANDLER: 0
; COMPUTE_PGM_RSRC2:TGID_X_EN: 1
; COMPUTE_PGM_RSRC2:TGID_Y_EN: 0
; COMPUTE_PGM_RSRC2:TGID_Z_EN: 0
; COMPUTE_PGM_RSRC2:TIDIG_COMP_CNT: 0
; COMPUTE_PGM_RSRC3_GFX90A:ACCUM_OFFSET: 12
; COMPUTE_PGM_RSRC3_GFX90A:TG_SPLIT: 0
	.section	.text._ZN4vllm17activation_kernelIfTnPFT_RKS1_EXadL_ZNS_17gelu_quick_kernelIfEES1_S3_EELb1ELb0EEEvPS1_PS2_i,"axG",@progbits,_ZN4vllm17activation_kernelIfTnPFT_RKS1_EXadL_ZNS_17gelu_quick_kernelIfEES1_S3_EELb1ELb0EEEvPS1_PS2_i,comdat
	.protected	_ZN4vllm17activation_kernelIfTnPFT_RKS1_EXadL_ZNS_17gelu_quick_kernelIfEES1_S3_EELb1ELb0EEEvPS1_PS2_i ; -- Begin function _ZN4vllm17activation_kernelIfTnPFT_RKS1_EXadL_ZNS_17gelu_quick_kernelIfEES1_S3_EELb1ELb0EEEvPS1_PS2_i
	.globl	_ZN4vllm17activation_kernelIfTnPFT_RKS1_EXadL_ZNS_17gelu_quick_kernelIfEES1_S3_EELb1ELb0EEEvPS1_PS2_i
	.p2align	8
	.type	_ZN4vllm17activation_kernelIfTnPFT_RKS1_EXadL_ZNS_17gelu_quick_kernelIfEES1_S3_EELb1ELb0EEEvPS1_PS2_i,@function
_ZN4vllm17activation_kernelIfTnPFT_RKS1_EXadL_ZNS_17gelu_quick_kernelIfEES1_S3_EELb1ELb0EEEvPS1_PS2_i: ; @_ZN4vllm17activation_kernelIfTnPFT_RKS1_EXadL_ZNS_17gelu_quick_kernelIfEES1_S3_EELb1ELb0EEEvPS1_PS2_i
; %bb.0:
	s_load_dword s0, s[4:5], 0x10
	s_waitcnt lgkmcnt(0)
	s_ashr_i32 s1, s0, 31
	s_lshr_b32 s1, s1, 30
	s_add_i32 s1, s0, s1
	s_ashr_i32 s27, s1, 2
	v_cmp_gt_i32_e32 vcc, s27, v0
	s_and_saveexec_b64 s[2:3], vcc
	s_cbranch_execz .LBB80_8
; %bb.1:
	s_load_dword s1, s[4:5], 0x24
	s_load_dwordx4 s[16:19], s[4:5], 0x0
	s_mul_i32 s20, s6, s0
	s_mov_b32 s21, 0
	s_waitcnt lgkmcnt(0)
	s_and_b32 s28, s1, 0xffff
	v_cvt_f32_u32_e32 v1, s28
	v_add_u32_e32 v2, s28, v0
	v_mov_b32_e32 v3, s28
	v_cmp_gt_i32_e32 vcc, s27, v2
	v_rcp_iflag_f32_e32 v1, v1
	s_cmp_eq_u32 s28, 1
	v_max_i32_e32 v4, s27, v2
	v_addc_co_u32_e64 v2, s[0:1], v0, v3, vcc
	v_mul_f32_e32 v1, 0x4f7ffffe, v1
	v_cvt_u32_f32_e32 v1, v1
	s_cselect_b64 s[2:3], -1, 0
	s_sub_i32 s0, 0, s28
	v_sub_u32_e32 v2, v4, v2
	v_mul_lo_u32 v3, s0, v1
	v_mul_hi_u32 v3, v1, v3
	v_add_u32_e32 v1, v1, v3
	v_mul_hi_u32 v1, v2, v1
	v_mul_lo_u32 v3, v1, s28
	v_sub_u32_e32 v2, v2, v3
	v_add_u32_e32 v3, 1, v1
	v_cmp_le_u32_e64 s[0:1], s28, v2
	v_cndmask_b32_e64 v1, v1, v3, s[0:1]
	v_subrev_u32_e32 v3, s28, v2
	v_cndmask_b32_e64 v2, v2, v3, s[0:1]
	v_add_u32_e32 v3, 1, v1
	v_cmp_le_u32_e64 s[0:1], s28, v2
	v_cndmask_b32_e64 v1, v1, v3, s[0:1]
	v_addc_co_u32_e32 v18, vcc, 1, v1, vcc
	v_cmp_lt_u32_e32 vcc, 1, v18
	s_and_b64 s[2:3], vcc, s[2:3]
	s_mov_b64 s[0:1], -1
	s_and_saveexec_b64 s[22:23], s[2:3]
	s_cbranch_execz .LBB80_5
; %bb.2:
	s_lshl_b64 s[0:1], s[20:21], 2
	s_add_u32 s29, s18, s0
	s_addc_u32 s2, s19, s1
	s_add_u32 s30, s16, s0
	s_addc_u32 s0, s17, s1
	v_and_b32_e32 v19, -2, v18
	v_add_u32_e32 v1, 1, v0
	s_mov_b64 s[24:25], 0
	v_mov_b32_e32 v20, s2
	s_mov_b32 s26, 0xbfd9db23
	s_mov_b32 s31, 0x3fb8aa3b
	;; [unrolled: 1-line block ×4, first 2 shown]
	v_mov_b32_e32 v21, 0x7f800000
	v_mov_b32_e32 v22, s0
	;; [unrolled: 1-line block ×4, first 2 shown]
	v_pk_mov_b32 v[12:13], v[0:1], v[0:1] op_sel:[0,1]
.LBB80_3:                               ; =>This Inner Loop Header: Depth=1
	v_mov_b32_e32 v10, v12
	v_lshlrev_b64 v[2:3], 4, v[10:11]
	v_add_co_u32_e32 v4, vcc, s29, v2
	v_addc_co_u32_e32 v5, vcc, v20, v3, vcc
	v_mov_b32_e32 v10, v13
	v_add_co_u32_e32 v14, vcc, s30, v2
	v_lshlrev_b64 v[6:7], 4, v[10:11]
	v_addc_co_u32_e32 v15, vcc, v22, v3, vcc
	v_add_co_u32_e32 v8, vcc, s29, v6
	v_addc_co_u32_e32 v9, vcc, v20, v7, vcc
	v_add_co_u32_e32 v16, vcc, s30, v6
	global_load_dwordx4 v[2:5], v[4:5], off
	v_addc_co_u32_e32 v17, vcc, v22, v7, vcc
	global_load_dwordx4 v[6:9], v[8:9], off
	v_add_u32_e32 v23, -2, v23
	v_cmp_eq_u32_e64 s[14:15], 0, v23
	v_add_u32_e32 v12, 2, v12
	v_add_u32_e32 v13, 2, v13
	s_or_b64 s[24:25], s[14:15], s[24:25]
	s_waitcnt vmcnt(1)
	v_mov_b32_e32 v24, v2
	v_mov_b32_e32 v26, v3
	;; [unrolled: 1-line block ×3, first 2 shown]
	s_waitcnt vmcnt(0)
	v_mov_b32_e32 v25, v6
	v_pk_mul_f32 v[24:25], v[24:25], s[26:27] op_sel_hi:[1,0]
	v_mov_b32_e32 v27, v7
	v_mov_b32_e32 v31, v9
	v_mul_f32_e32 v1, 0x3fb8aa3b, v25
	v_mul_f32_e32 v10, 0x3fb8aa3b, v24
	v_pk_mul_f32 v[26:27], v[26:27], s[26:27] op_sel_hi:[1,0]
	v_pk_mul_f32 v[30:31], v[30:31], s[26:27] op_sel_hi:[1,0]
	v_fma_f32 v38, v25, s31, -v1
	v_rndne_f32_e32 v39, v1
	v_fma_f32 v40, v24, s31, -v10
	v_rndne_f32_e32 v41, v10
	v_mov_b32_e32 v28, v4
	v_mov_b32_e32 v29, v8
	v_mul_f32_e32 v32, 0x3fb8aa3b, v27
	v_mul_f32_e32 v33, 0x3fb8aa3b, v26
	;; [unrolled: 1-line block ×4, first 2 shown]
	v_fmac_f32_e32 v38, 0x32a5705f, v25
	v_sub_f32_e32 v1, v1, v39
	v_fmac_f32_e32 v40, 0x32a5705f, v24
	v_sub_f32_e32 v10, v10, v41
	v_pk_mul_f32 v[28:29], v[28:29], s[26:27] op_sel_hi:[1,0]
	v_fma_f32 v42, v27, s31, -v32
	v_rndne_f32_e32 v43, v32
	v_fma_f32 v44, v26, s31, -v33
	v_rndne_f32_e32 v45, v33
	;; [unrolled: 2-line block ×4, first 2 shown]
	v_add_f32_e32 v1, v1, v38
	v_add_f32_e32 v10, v10, v40
	v_mul_f32_e32 v34, 0x3fb8aa3b, v29
	v_mul_f32_e32 v35, 0x3fb8aa3b, v28
	v_cvt_i32_f32_e32 v39, v39
	v_cvt_i32_f32_e32 v41, v41
	v_fmac_f32_e32 v42, 0x32a5705f, v27
	v_sub_f32_e32 v32, v32, v43
	v_fmac_f32_e32 v44, 0x32a5705f, v26
	v_sub_f32_e32 v33, v33, v45
	;; [unrolled: 2-line block ×4, first 2 shown]
	v_exp_f32_e32 v1, v1
	v_exp_f32_e32 v10, v10
	v_fma_f32 v46, v29, s31, -v34
	v_rndne_f32_e32 v47, v34
	v_fma_f32 v48, v28, s31, -v35
	v_rndne_f32_e32 v49, v35
	v_add_f32_e32 v32, v32, v42
	v_add_f32_e32 v33, v33, v44
	;; [unrolled: 1-line block ×4, first 2 shown]
	v_cvt_i32_f32_e32 v43, v43
	v_cvt_i32_f32_e32 v45, v45
	v_fmac_f32_e32 v46, 0x32a5705f, v29
	v_sub_f32_e32 v34, v34, v47
	v_fmac_f32_e32 v48, 0x32a5705f, v28
	v_sub_f32_e32 v35, v35, v49
	v_cvt_i32_f32_e32 v51, v51
	v_cvt_i32_f32_e32 v53, v53
	v_exp_f32_e32 v32, v32
	v_exp_f32_e32 v33, v33
	;; [unrolled: 1-line block ×4, first 2 shown]
	v_add_f32_e32 v34, v34, v46
	v_add_f32_e32 v35, v35, v48
	v_cvt_i32_f32_e32 v47, v47
	v_cvt_i32_f32_e32 v49, v49
	v_exp_f32_e32 v34, v34
	v_exp_f32_e32 v35, v35
	v_ldexp_f32 v1, v1, v39
	v_ldexp_f32 v10, v10, v41
	v_cmp_ngt_f32_e32 vcc, s33, v24
	v_cmp_ngt_f32_e64 s[12:13], s33, v25
	v_cndmask_b32_e64 v1, 0, v1, s[12:13]
	v_cndmask_b32_e32 v10, 0, v10, vcc
	v_cmp_nlt_f32_e32 vcc, s34, v24
	v_cmp_nlt_f32_e64 s[12:13], s34, v25
	v_ldexp_f32 v32, v32, v43
	v_cmp_ngt_f32_e64 s[0:1], s33, v27
	v_ldexp_f32 v33, v33, v45
	v_cmp_ngt_f32_e64 s[2:3], s33, v26
	;; [unrolled: 2-line block ×4, first 2 shown]
	v_cndmask_b32_e64 v25, v21, v1, s[12:13]
	v_cndmask_b32_e32 v24, v21, v10, vcc
	v_cndmask_b32_e64 v32, 0, v32, s[0:1]
	v_cmp_nlt_f32_e64 s[0:1], s34, v27
	v_cndmask_b32_e64 v33, 0, v33, s[2:3]
	v_cmp_nlt_f32_e64 s[2:3], s34, v26
	;; [unrolled: 2-line block ×4, first 2 shown]
	v_pk_add_f32 v[24:25], v[24:25], 1.0 op_sel_hi:[1,0]
	v_ldexp_f32 v34, v34, v47
	v_cmp_ngt_f32_e64 s[4:5], s33, v29
	v_ldexp_f32 v35, v35, v49
	v_cmp_ngt_f32_e64 s[6:7], s33, v28
	v_cndmask_b32_e64 v27, v21, v32, s[0:1]
	v_cndmask_b32_e64 v26, v21, v33, s[2:3]
	;; [unrolled: 1-line block ×4, first 2 shown]
	v_div_scale_f32 v1, s[0:1], v25, v25, v6
	v_cndmask_b32_e64 v34, 0, v34, s[4:5]
	v_cmp_nlt_f32_e64 s[4:5], s34, v29
	v_cndmask_b32_e64 v35, 0, v35, s[6:7]
	v_cmp_nlt_f32_e64 s[6:7], s34, v28
	v_pk_add_f32 v[26:27], v[26:27], 1.0 op_sel_hi:[1,0]
	v_pk_add_f32 v[30:31], v[30:31], 1.0 op_sel_hi:[1,0]
	v_div_scale_f32 v32, s[0:1], v24, v24, v2
	v_rcp_f32_e32 v46, v1
	v_cndmask_b32_e64 v29, v21, v34, s[4:5]
	v_cndmask_b32_e64 v28, v21, v35, s[6:7]
	v_div_scale_f32 v34, s[0:1], v27, v27, v7
	v_div_scale_f32 v44, s[0:1], v30, v30, v5
	v_rcp_f32_e32 v47, v32
	v_pk_add_f32 v[28:29], v[28:29], 1.0 op_sel_hi:[1,0]
	v_div_scale_f32 v36, s[0:1], v26, v26, v3
	v_rcp_f32_e32 v48, v34
	v_rcp_f32_e32 v53, v44
	v_div_scale_f32 v38, s[0:1], v29, v29, v8
	v_rcp_f32_e32 v49, v36
	v_div_scale_f32 v40, s[0:1], v28, v28, v4
	v_rcp_f32_e32 v50, v38
	v_fma_f32 v54, -v1, v46, 1.0
	v_div_scale_f32 v10, vcc, v6, v25, v6
	v_div_scale_f32 v42, s[0:1], v31, v31, v9
	v_rcp_f32_e32 v51, v40
	v_fma_f32 v55, -v32, v47, 1.0
	v_fmac_f32_e32 v46, v54, v46
	v_div_scale_f32 v33, s[8:9], v2, v24, v2
	v_rcp_f32_e32 v52, v42
	v_fma_f32 v56, -v34, v48, 1.0
	v_fma_f32 v61, -v44, v53, 1.0
	v_fmac_f32_e32 v47, v55, v47
	v_mul_f32_e32 v54, v10, v46
	v_div_scale_f32 v35, s[10:11], v7, v27, v7
	v_fma_f32 v57, -v36, v49, 1.0
	v_fmac_f32_e32 v48, v56, v48
	v_fmac_f32_e32 v53, v61, v53
	v_mul_f32_e32 v55, v33, v47
	v_fma_f32 v61, -v1, v54, v10
	v_div_scale_f32 v37, s[12:13], v3, v26, v3
	v_fma_f32 v58, -v38, v50, 1.0
	v_fmac_f32_e32 v49, v57, v49
	v_mul_f32_e32 v56, v35, v48
	v_fmac_f32_e32 v54, v61, v46
	v_fma_f32 v61, -v32, v55, v33
	v_div_scale_f32 v39, s[6:7], v8, v29, v8
	v_fma_f32 v59, -v40, v51, 1.0
	v_fmac_f32_e32 v50, v58, v50
	v_mul_f32_e32 v57, v37, v49
	v_fmac_f32_e32 v55, v61, v47
	;; [unrolled: 6-line block ×3, first 2 shown]
	v_fma_f32 v61, -v36, v57, v37
	v_fma_f32 v1, -v1, v54, v10
	v_div_scale_f32 v43, s[2:3], v9, v31, v9
	v_fmac_f32_e32 v52, v60, v52
	v_mul_f32_e32 v59, v41, v51
	v_fmac_f32_e32 v57, v61, v49
	v_fma_f32 v61, -v38, v58, v39
	v_fma_f32 v10, -v32, v55, v33
	v_div_fmas_f32 v1, v1, v46, v54
	s_mov_b64 vcc, s[8:9]
	v_mul_f32_e32 v60, v43, v52
	v_fmac_f32_e32 v58, v61, v50
	v_fma_f32 v61, -v40, v59, v41
	v_fma_f32 v32, -v34, v56, v35
	v_div_fixup_f32 v6, v1, v25, v6
	v_div_fmas_f32 v1, v10, v47, v55
	s_mov_b64 vcc, s[10:11]
	v_div_scale_f32 v45, s[0:1], v5, v30, v5
	v_fmac_f32_e32 v59, v61, v51
	v_fma_f32 v61, -v42, v60, v43
	v_fma_f32 v33, -v36, v57, v37
	v_div_fixup_f32 v2, v1, v24, v2
	v_div_fmas_f32 v1, v32, v48, v56
	s_mov_b64 vcc, s[12:13]
	v_fmac_f32_e32 v60, v61, v52
	v_mul_f32_e32 v61, v45, v53
	v_fma_f32 v34, -v38, v58, v39
	v_div_fixup_f32 v7, v1, v27, v7
	v_div_fmas_f32 v1, v33, v49, v57
	s_mov_b64 vcc, s[6:7]
	v_fma_f32 v62, -v44, v61, v45
	v_fma_f32 v35, -v40, v59, v41
	v_div_fixup_f32 v3, v1, v26, v3
	v_div_fmas_f32 v1, v34, v50, v58
	s_mov_b64 vcc, s[4:5]
	v_fmac_f32_e32 v61, v62, v53
	v_fma_f32 v36, -v42, v60, v43
	v_div_fixup_f32 v8, v1, v29, v8
	v_div_fmas_f32 v1, v35, v51, v59
	s_mov_b64 vcc, s[2:3]
	v_fma_f32 v37, -v44, v61, v45
	v_div_fixup_f32 v4, v1, v28, v4
	v_div_fmas_f32 v1, v36, v52, v60
	s_mov_b64 vcc, s[0:1]
	v_div_fixup_f32 v9, v1, v31, v9
	v_div_fmas_f32 v1, v37, v53, v61
	v_div_fixup_f32 v5, v1, v30, v5
	global_store_dwordx4 v[14:15], v[2:5], off
	global_store_dwordx4 v[16:17], v[6:9], off
	s_andn2_b64 exec, exec, s[24:25]
	s_cbranch_execnz .LBB80_3
; %bb.4:
	s_or_b64 exec, exec, s[24:25]
	v_cmp_ne_u32_e32 vcc, v18, v19
	v_add_u32_e32 v0, v0, v19
	s_orn2_b64 s[0:1], vcc, exec
.LBB80_5:
	s_or_b64 exec, exec, s[22:23]
	s_and_b64 exec, exec, s[0:1]
	s_cbranch_execz .LBB80_8
; %bb.6:
	v_mov_b32_e32 v1, 0
	s_lshl_b64 s[0:1], s[20:21], 2
	s_lshl_b32 s9, s28, 4
	v_lshlrev_b64 v[2:3], 4, v[0:1]
	s_add_u32 s10, s18, 8
	s_mov_b32 s2, 0
	v_mov_b32_e32 v1, s1
	v_add_co_u32_e32 v2, vcc, s0, v2
	s_addc_u32 s0, s19, 0
	v_addc_co_u32_e32 v1, vcc, v3, v1, vcc
	s_mov_b64 s[6:7], 0
	v_mov_b32_e32 v3, s0
	v_mov_b32_e32 v8, s17
	s_mov_b32 s8, 0xbfd9db23
	s_mov_b32 s11, 0x3fb8aa3b
	;; [unrolled: 1-line block ×4, first 2 shown]
	v_mov_b32_e32 v9, 0x7f800000
	v_mov_b32_e32 v10, s2
.LBB80_7:                               ; =>This Inner Loop Header: Depth=1
	v_add_co_u32_e32 v6, vcc, s10, v2
	v_addc_co_u32_e32 v7, vcc, v3, v1, vcc
	global_load_dwordx4 v[12:15], v[6:7], off offset:-8
	v_add_co_u32_e32 v4, vcc, s16, v2
	v_addc_co_u32_e32 v5, vcc, v8, v1, vcc
	v_add_co_u32_e32 v2, vcc, s9, v2
	v_add_u32_e32 v0, s28, v0
	v_addc_co_u32_e32 v1, vcc, v1, v10, vcc
	v_cmp_le_i32_e32 vcc, s27, v0
	s_or_b64 s[6:7], vcc, s[6:7]
	s_waitcnt vmcnt(0)
	v_pk_mul_f32 v[6:7], v[12:13], s[8:9] op_sel_hi:[1,0]
	v_mul_f32_e32 v11, 0x3fb8aa3b, v7
	v_mul_f32_e32 v18, 0x3fb8aa3b, v6
	v_pk_mul_f32 v[16:17], v[14:15], s[8:9] op_sel_hi:[1,0]
	v_fma_f32 v21, v7, s11, -v11
	v_rndne_f32_e32 v22, v11
	v_fma_f32 v23, v6, s11, -v18
	v_rndne_f32_e32 v24, v18
	v_mul_f32_e32 v19, 0x3fb8aa3b, v17
	v_mul_f32_e32 v20, 0x3fb8aa3b, v16
	v_fmac_f32_e32 v21, 0x32a5705f, v7
	v_sub_f32_e32 v11, v11, v22
	v_fmac_f32_e32 v23, 0x32a5705f, v6
	v_sub_f32_e32 v18, v18, v24
	v_fma_f32 v25, v17, s11, -v19
	v_rndne_f32_e32 v26, v19
	v_fma_f32 v27, v16, s11, -v20
	v_rndne_f32_e32 v28, v20
	v_add_f32_e32 v11, v11, v21
	v_add_f32_e32 v18, v18, v23
	v_cvt_i32_f32_e32 v22, v22
	v_cvt_i32_f32_e32 v24, v24
	v_fmac_f32_e32 v25, 0x32a5705f, v17
	v_sub_f32_e32 v19, v19, v26
	v_fmac_f32_e32 v27, 0x32a5705f, v16
	v_sub_f32_e32 v20, v20, v28
	v_exp_f32_e32 v11, v11
	v_exp_f32_e32 v18, v18
	v_add_f32_e32 v19, v19, v25
	v_add_f32_e32 v20, v20, v27
	v_cvt_i32_f32_e32 v26, v26
	v_cvt_i32_f32_e32 v28, v28
	v_exp_f32_e32 v19, v19
	v_exp_f32_e32 v20, v20
	v_ldexp_f32 v11, v11, v22
	v_ldexp_f32 v18, v18, v24
	v_cmp_ngt_f32_e32 vcc, s12, v6
	v_cmp_ngt_f32_e64 s[4:5], s12, v7
	v_cndmask_b32_e64 v11, 0, v11, s[4:5]
	v_cndmask_b32_e32 v18, 0, v18, vcc
	v_cmp_nlt_f32_e32 vcc, s13, v6
	v_cmp_nlt_f32_e64 s[4:5], s13, v7
	v_ldexp_f32 v19, v19, v26
	v_cmp_ngt_f32_e64 s[0:1], s12, v17
	v_ldexp_f32 v20, v20, v28
	v_cmp_ngt_f32_e64 s[2:3], s12, v16
	v_cndmask_b32_e64 v7, v9, v11, s[4:5]
	v_cndmask_b32_e32 v6, v9, v18, vcc
	v_cndmask_b32_e64 v19, 0, v19, s[0:1]
	v_cmp_nlt_f32_e64 s[0:1], s13, v17
	v_cndmask_b32_e64 v20, 0, v20, s[2:3]
	v_cmp_nlt_f32_e64 s[2:3], s13, v16
	v_pk_add_f32 v[6:7], v[6:7], 1.0 op_sel_hi:[1,0]
	v_cndmask_b32_e64 v17, v9, v19, s[0:1]
	v_cndmask_b32_e64 v16, v9, v20, s[2:3]
	v_div_scale_f32 v11, s[0:1], v7, v7, v13
	v_pk_add_f32 v[16:17], v[16:17], 1.0 op_sel_hi:[1,0]
	v_div_scale_f32 v19, s[0:1], v6, v6, v12
	v_rcp_f32_e32 v25, v11
	v_div_scale_f32 v21, s[2:3], v17, v17, v15
	v_rcp_f32_e32 v26, v19
	;; [unrolled: 2-line block ×3, first 2 shown]
	v_rcp_f32_e32 v28, v23
	v_fma_f32 v29, -v11, v25, 1.0
	v_div_scale_f32 v18, vcc, v13, v7, v13
	v_fma_f32 v30, -v19, v26, 1.0
	v_fmac_f32_e32 v25, v29, v25
	v_div_scale_f32 v20, s[0:1], v12, v6, v12
	v_fma_f32 v31, -v21, v27, 1.0
	v_fmac_f32_e32 v26, v30, v26
	v_mul_f32_e32 v29, v18, v25
	v_div_scale_f32 v22, s[2:3], v15, v17, v15
	v_fma_f32 v32, -v23, v28, 1.0
	v_fmac_f32_e32 v27, v31, v27
	v_mul_f32_e32 v30, v20, v26
	v_fma_f32 v33, -v11, v29, v18
	v_div_scale_f32 v24, s[4:5], v14, v16, v14
	v_fmac_f32_e32 v28, v32, v28
	v_mul_f32_e32 v31, v22, v27
	v_fma_f32 v34, -v19, v30, v20
	v_fmac_f32_e32 v29, v33, v25
	v_mul_f32_e32 v32, v24, v28
	v_fma_f32 v35, -v21, v31, v22
	v_fmac_f32_e32 v30, v34, v26
	v_fma_f32 v11, -v11, v29, v18
	v_fma_f32 v36, -v23, v32, v24
	v_fmac_f32_e32 v31, v35, v27
	v_fma_f32 v18, -v19, v30, v20
	v_div_fmas_f32 v11, v11, v25, v29
	s_mov_b64 vcc, s[0:1]
	v_fmac_f32_e32 v32, v36, v28
	v_fma_f32 v19, -v21, v31, v22
	v_div_fixup_f32 v13, v11, v7, v13
	v_div_fmas_f32 v7, v18, v26, v30
	s_mov_b64 vcc, s[2:3]
	v_fma_f32 v20, -v23, v32, v24
	v_div_fixup_f32 v12, v7, v6, v12
	v_div_fmas_f32 v6, v19, v27, v31
	s_mov_b64 vcc, s[4:5]
	v_div_fixup_f32 v15, v6, v17, v15
	v_div_fmas_f32 v6, v20, v28, v32
	v_div_fixup_f32 v14, v6, v16, v14
	global_store_dwordx4 v[4:5], v[12:15], off
	s_andn2_b64 exec, exec, s[6:7]
	s_cbranch_execnz .LBB80_7
.LBB80_8:
	s_endpgm
	.section	.rodata,"a",@progbits
	.p2align	6, 0x0
	.amdhsa_kernel _ZN4vllm17activation_kernelIfTnPFT_RKS1_EXadL_ZNS_17gelu_quick_kernelIfEES1_S3_EELb1ELb0EEEvPS1_PS2_i
		.amdhsa_group_segment_fixed_size 0
		.amdhsa_private_segment_fixed_size 0
		.amdhsa_kernarg_size 280
		.amdhsa_user_sgpr_count 6
		.amdhsa_user_sgpr_private_segment_buffer 1
		.amdhsa_user_sgpr_dispatch_ptr 0
		.amdhsa_user_sgpr_queue_ptr 0
		.amdhsa_user_sgpr_kernarg_segment_ptr 1
		.amdhsa_user_sgpr_dispatch_id 0
		.amdhsa_user_sgpr_flat_scratch_init 0
		.amdhsa_user_sgpr_kernarg_preload_length 0
		.amdhsa_user_sgpr_kernarg_preload_offset 0
		.amdhsa_user_sgpr_private_segment_size 0
		.amdhsa_uses_dynamic_stack 0
		.amdhsa_system_sgpr_private_segment_wavefront_offset 0
		.amdhsa_system_sgpr_workgroup_id_x 1
		.amdhsa_system_sgpr_workgroup_id_y 0
		.amdhsa_system_sgpr_workgroup_id_z 0
		.amdhsa_system_sgpr_workgroup_info 0
		.amdhsa_system_vgpr_workitem_id 0
		.amdhsa_next_free_vgpr 63
		.amdhsa_next_free_sgpr 35
		.amdhsa_accum_offset 64
		.amdhsa_reserve_vcc 1
		.amdhsa_reserve_flat_scratch 0
		.amdhsa_float_round_mode_32 0
		.amdhsa_float_round_mode_16_64 0
		.amdhsa_float_denorm_mode_32 3
		.amdhsa_float_denorm_mode_16_64 3
		.amdhsa_dx10_clamp 1
		.amdhsa_ieee_mode 1
		.amdhsa_fp16_overflow 0
		.amdhsa_tg_split 0
		.amdhsa_exception_fp_ieee_invalid_op 0
		.amdhsa_exception_fp_denorm_src 0
		.amdhsa_exception_fp_ieee_div_zero 0
		.amdhsa_exception_fp_ieee_overflow 0
		.amdhsa_exception_fp_ieee_underflow 0
		.amdhsa_exception_fp_ieee_inexact 0
		.amdhsa_exception_int_div_zero 0
	.end_amdhsa_kernel
	.section	.text._ZN4vllm17activation_kernelIfTnPFT_RKS1_EXadL_ZNS_17gelu_quick_kernelIfEES1_S3_EELb1ELb0EEEvPS1_PS2_i,"axG",@progbits,_ZN4vllm17activation_kernelIfTnPFT_RKS1_EXadL_ZNS_17gelu_quick_kernelIfEES1_S3_EELb1ELb0EEEvPS1_PS2_i,comdat
.Lfunc_end80:
	.size	_ZN4vllm17activation_kernelIfTnPFT_RKS1_EXadL_ZNS_17gelu_quick_kernelIfEES1_S3_EELb1ELb0EEEvPS1_PS2_i, .Lfunc_end80-_ZN4vllm17activation_kernelIfTnPFT_RKS1_EXadL_ZNS_17gelu_quick_kernelIfEES1_S3_EELb1ELb0EEEvPS1_PS2_i
                                        ; -- End function
	.section	.AMDGPU.csdata,"",@progbits
; Kernel info:
; codeLenInByte = 2680
; NumSgprs: 39
; NumVgprs: 63
; NumAgprs: 0
; TotalNumVgprs: 63
; ScratchSize: 0
; MemoryBound: 0
; FloatMode: 240
; IeeeMode: 1
; LDSByteSize: 0 bytes/workgroup (compile time only)
; SGPRBlocks: 4
; VGPRBlocks: 7
; NumSGPRsForWavesPerEU: 39
; NumVGPRsForWavesPerEU: 63
; AccumOffset: 64
; Occupancy: 8
; WaveLimiterHint : 0
; COMPUTE_PGM_RSRC2:SCRATCH_EN: 0
; COMPUTE_PGM_RSRC2:USER_SGPR: 6
; COMPUTE_PGM_RSRC2:TRAP_HANDLER: 0
; COMPUTE_PGM_RSRC2:TGID_X_EN: 1
; COMPUTE_PGM_RSRC2:TGID_Y_EN: 0
; COMPUTE_PGM_RSRC2:TGID_Z_EN: 0
; COMPUTE_PGM_RSRC2:TIDIG_COMP_CNT: 0
; COMPUTE_PGM_RSRC3_GFX90A:ACCUM_OFFSET: 15
; COMPUTE_PGM_RSRC3_GFX90A:TG_SPLIT: 0
	.section	.text._ZN4vllm17activation_kernelIN3c104HalfETnPFT_RKS3_EXadL_ZNS_17gelu_quick_kernelIS2_EES3_S5_EELb1ELb0EEEvPS3_PS4_i,"axG",@progbits,_ZN4vllm17activation_kernelIN3c104HalfETnPFT_RKS3_EXadL_ZNS_17gelu_quick_kernelIS2_EES3_S5_EELb1ELb0EEEvPS3_PS4_i,comdat
	.protected	_ZN4vllm17activation_kernelIN3c104HalfETnPFT_RKS3_EXadL_ZNS_17gelu_quick_kernelIS2_EES3_S5_EELb1ELb0EEEvPS3_PS4_i ; -- Begin function _ZN4vllm17activation_kernelIN3c104HalfETnPFT_RKS3_EXadL_ZNS_17gelu_quick_kernelIS2_EES3_S5_EELb1ELb0EEEvPS3_PS4_i
	.globl	_ZN4vllm17activation_kernelIN3c104HalfETnPFT_RKS3_EXadL_ZNS_17gelu_quick_kernelIS2_EES3_S5_EELb1ELb0EEEvPS3_PS4_i
	.p2align	8
	.type	_ZN4vllm17activation_kernelIN3c104HalfETnPFT_RKS3_EXadL_ZNS_17gelu_quick_kernelIS2_EES3_S5_EELb1ELb0EEEvPS3_PS4_i,@function
_ZN4vllm17activation_kernelIN3c104HalfETnPFT_RKS3_EXadL_ZNS_17gelu_quick_kernelIS2_EES3_S5_EELb1ELb0EEEvPS3_PS4_i: ; @_ZN4vllm17activation_kernelIN3c104HalfETnPFT_RKS3_EXadL_ZNS_17gelu_quick_kernelIS2_EES3_S5_EELb1ELb0EEEvPS3_PS4_i
; %bb.0:
	s_load_dword s0, s[4:5], 0x10
	s_waitcnt lgkmcnt(0)
	s_ashr_i32 s1, s0, 31
	s_lshr_b32 s1, s1, 29
	s_add_i32 s1, s0, s1
	s_ashr_i32 s20, s1, 3
	v_cmp_gt_i32_e32 vcc, s20, v0
	s_and_saveexec_b64 s[2:3], vcc
	s_cbranch_execz .LBB81_3
; %bb.1:
	s_load_dword s2, s[4:5], 0x24
	s_load_dwordx4 s[16:19], s[4:5], 0x0
	s_mul_i32 s0, s6, s0
	s_mov_b32 s1, 0
	v_lshlrev_b32_e32 v1, 4, v0
	s_waitcnt lgkmcnt(0)
	s_and_b32 s21, s2, 0xffff
	s_lshl_b64 s[2:3], s[0:1], 1
	s_lshl_b32 s22, s21, 4
	s_add_u32 s23, s18, 8
	v_mov_b32_e32 v3, s3
	v_add_co_u32_e32 v2, vcc, s2, v1
	s_addc_u32 s0, s19, 0
	v_addc_co_u32_e32 v1, vcc, 0, v3, vcc
	s_mov_b64 s[14:15], 0
	v_mov_b32_e32 v3, s0
	v_mov_b32_e32 v14, s17
	s_mov_b32 s18, 0xbfd9db23
	s_mov_b32 s17, 0x3fb8aa3b
	;; [unrolled: 1-line block ×4, first 2 shown]
	v_mov_b32_e32 v15, 0x7f800000
	v_mov_b32_e32 v16, s1
.LBB81_2:                               ; =>This Inner Loop Header: Depth=1
	v_add_co_u32_e32 v6, vcc, s23, v2
	v_addc_co_u32_e32 v7, vcc, v3, v1, vcc
	global_load_dwordx4 v[18:21], v[6:7], off offset:-8
	v_add_co_u32_e32 v4, vcc, s16, v2
	v_addc_co_u32_e32 v5, vcc, v14, v1, vcc
	v_add_co_u32_e32 v2, vcc, s22, v2
	v_add_u32_e32 v0, s21, v0
	v_addc_co_u32_e32 v1, vcc, v1, v16, vcc
	v_cmp_le_i32_e32 vcc, s20, v0
	s_or_b64 s[14:15], vcc, s[14:15]
	s_waitcnt vmcnt(0)
	v_cvt_f32_f16_e32 v12, v19
	v_cvt_f32_f16_sdwa v13, v19 dst_sel:DWORD dst_unused:UNUSED_PAD src0_sel:WORD_1
	v_cvt_f32_f16_e32 v10, v18
	v_cvt_f32_f16_sdwa v11, v18 dst_sel:DWORD dst_unused:UNUSED_PAD src0_sel:WORD_1
	v_cvt_f32_f16_e32 v8, v21
	v_cvt_f32_f16_e32 v6, v20
	v_cvt_f32_f16_sdwa v7, v20 dst_sel:DWORD dst_unused:UNUSED_PAD src0_sel:WORD_1
	v_cvt_f32_f16_sdwa v9, v21 dst_sel:DWORD dst_unused:UNUSED_PAD src0_sel:WORD_1
	v_pk_mul_f32 v[20:21], v[12:13], s[18:19] op_sel_hi:[1,0]
	v_pk_mul_f32 v[18:19], v[10:11], s[18:19] op_sel_hi:[1,0]
	v_mul_f32_e32 v17, 0x3fb8aa3b, v21
	v_mul_f32_e32 v26, 0x3fb8aa3b, v20
	;; [unrolled: 1-line block ×4, first 2 shown]
	v_fma_f32 v33, v21, s17, -v17
	v_rndne_f32_e32 v34, v17
	v_fma_f32 v35, v20, s17, -v26
	v_rndne_f32_e32 v36, v26
	;; [unrolled: 2-line block ×4, first 2 shown]
	v_fmac_f32_e32 v33, 0x32a5705f, v21
	v_sub_f32_e32 v17, v17, v34
	v_fmac_f32_e32 v35, 0x32a5705f, v20
	v_sub_f32_e32 v26, v26, v36
	v_pk_mul_f32 v[22:23], v[6:7], s[18:19] op_sel_hi:[1,0]
	v_pk_mul_f32 v[24:25], v[8:9], s[18:19] op_sel_hi:[1,0]
	v_fmac_f32_e32 v37, 0x32a5705f, v19
	v_sub_f32_e32 v27, v27, v38
	v_fmac_f32_e32 v39, 0x32a5705f, v18
	v_sub_f32_e32 v28, v28, v40
	v_add_f32_e32 v17, v17, v33
	v_add_f32_e32 v26, v26, v35
	v_mul_f32_e32 v29, 0x3fb8aa3b, v25
	v_mul_f32_e32 v30, 0x3fb8aa3b, v24
	;; [unrolled: 1-line block ×4, first 2 shown]
	v_cvt_i32_f32_e32 v34, v34
	v_cvt_i32_f32_e32 v36, v36
	v_add_f32_e32 v27, v27, v37
	v_add_f32_e32 v28, v28, v39
	v_exp_f32_e32 v17, v17
	v_exp_f32_e32 v26, v26
	v_fma_f32 v41, v25, s17, -v29
	v_rndne_f32_e32 v42, v29
	v_fma_f32 v43, v24, s17, -v30
	v_rndne_f32_e32 v44, v30
	;; [unrolled: 2-line block ×4, first 2 shown]
	v_cvt_i32_f32_e32 v38, v38
	v_cvt_i32_f32_e32 v40, v40
	v_exp_f32_e32 v27, v27
	v_exp_f32_e32 v28, v28
	v_fmac_f32_e32 v41, 0x32a5705f, v25
	v_sub_f32_e32 v29, v29, v42
	v_fmac_f32_e32 v43, 0x32a5705f, v24
	v_sub_f32_e32 v30, v30, v44
	;; [unrolled: 2-line block ×4, first 2 shown]
	v_add_f32_e32 v29, v29, v41
	v_add_f32_e32 v30, v30, v43
	;; [unrolled: 1-line block ×4, first 2 shown]
	v_cvt_i32_f32_e32 v42, v42
	v_cvt_i32_f32_e32 v44, v44
	;; [unrolled: 1-line block ×4, first 2 shown]
	v_exp_f32_e32 v29, v29
	v_exp_f32_e32 v30, v30
	;; [unrolled: 1-line block ×4, first 2 shown]
	v_ldexp_f32 v17, v17, v34
	v_ldexp_f32 v26, v26, v36
	v_cmp_ngt_f32_e32 vcc, s19, v20
	v_cmp_ngt_f32_e64 s[12:13], s19, v21
	v_ldexp_f32 v27, v27, v38
	v_cmp_ngt_f32_e64 s[0:1], s19, v19
	v_ldexp_f32 v28, v28, v40
	v_cmp_ngt_f32_e64 s[2:3], s19, v18
	v_cndmask_b32_e64 v17, 0, v17, s[12:13]
	v_cndmask_b32_e32 v26, 0, v26, vcc
	v_cmp_nlt_f32_e32 vcc, s24, v20
	v_cmp_nlt_f32_e64 s[12:13], s24, v21
	v_cndmask_b32_e64 v20, 0, v27, s[0:1]
	v_cmp_nlt_f32_e64 s[0:1], s24, v19
	v_cndmask_b32_e64 v27, 0, v28, s[2:3]
	;; [unrolled: 2-line block ×3, first 2 shown]
	v_cndmask_b32_e32 v18, v15, v26, vcc
	v_pk_add_f32 v[18:19], v[18:19], 1.0 op_sel_hi:[1,0]
	v_ldexp_f32 v29, v29, v42
	v_cmp_ngt_f32_e64 s[4:5], s19, v25
	v_ldexp_f32 v30, v30, v44
	v_cmp_ngt_f32_e64 s[6:7], s19, v24
	;; [unrolled: 2-line block ×4, first 2 shown]
	v_cndmask_b32_e64 v21, v15, v20, s[0:1]
	v_cndmask_b32_e64 v20, v15, v27, s[2:3]
	v_div_scale_f32 v17, s[0:1], v18, v18, v12
	v_cndmask_b32_e64 v28, 0, v29, s[4:5]
	v_cmp_nlt_f32_e64 s[4:5], s24, v25
	v_cndmask_b32_e64 v25, 0, v30, s[6:7]
	v_cmp_nlt_f32_e64 s[6:7], s24, v24
	;; [unrolled: 2-line block ×4, first 2 shown]
	v_pk_add_f32 v[20:21], v[20:21], 1.0 op_sel_hi:[1,0]
	v_div_scale_f32 v27, s[0:1], v19, v19, v13
	v_rcp_f32_e32 v41, v17
	v_cndmask_b32_e64 v23, v15, v28, s[4:5]
	v_cndmask_b32_e64 v22, v15, v25, s[6:7]
	;; [unrolled: 1-line block ×4, first 2 shown]
	v_div_scale_f32 v29, s[2:3], v20, v20, v10
	v_rcp_f32_e32 v42, v27
	v_pk_add_f32 v[22:23], v[22:23], 1.0 op_sel_hi:[1,0]
	v_div_scale_f32 v31, s[4:5], v21, v21, v11
	v_rcp_f32_e32 v43, v29
	v_div_scale_f32 v33, s[6:7], v22, v22, v8
	v_rcp_f32_e32 v44, v31
	v_pk_add_f32 v[24:25], v[24:25], 1.0 op_sel_hi:[1,0]
	v_div_scale_f32 v35, s[8:9], v23, v23, v9
	v_rcp_f32_e32 v45, v33
	v_fma_f32 v49, -v17, v41, 1.0
	v_div_scale_f32 v26, vcc, v12, v18, v12
	v_div_scale_f32 v37, s[10:11], v24, v24, v6
	v_rcp_f32_e32 v46, v35
	v_fma_f32 v50, -v27, v42, 1.0
	v_fmac_f32_e32 v41, v49, v41
	v_div_scale_f32 v28, s[0:1], v13, v19, v13
	v_div_scale_f32 v39, s[12:13], v25, v25, v7
	v_rcp_f32_e32 v47, v37
	v_fma_f32 v51, -v29, v43, 1.0
	v_fmac_f32_e32 v42, v50, v42
	v_mul_f32_e32 v49, v26, v41
	v_div_scale_f32 v30, s[2:3], v10, v20, v10
	v_rcp_f32_e32 v48, v39
	v_fma_f32 v52, -v31, v44, 1.0
	v_fmac_f32_e32 v43, v51, v43
	v_mul_f32_e32 v50, v28, v42
	v_fma_f32 v57, -v17, v49, v26
	v_div_scale_f32 v32, s[4:5], v11, v21, v11
	v_fma_f32 v53, -v33, v45, 1.0
	v_fmac_f32_e32 v44, v52, v44
	v_mul_f32_e32 v51, v30, v43
	v_fmac_f32_e32 v49, v57, v41
	v_fma_f32 v57, -v27, v50, v28
	v_div_scale_f32 v34, s[6:7], v8, v22, v8
	v_fma_f32 v54, -v35, v46, 1.0
	v_fmac_f32_e32 v45, v53, v45
	v_mul_f32_e32 v52, v32, v44
	v_fmac_f32_e32 v50, v57, v42
	v_fma_f32 v57, -v29, v51, v30
	v_fma_f32 v17, -v17, v49, v26
	v_div_scale_f32 v36, s[8:9], v9, v23, v9
	v_fma_f32 v55, -v37, v47, 1.0
	v_fmac_f32_e32 v46, v54, v46
	v_mul_f32_e32 v53, v34, v45
	v_fmac_f32_e32 v51, v57, v43
	v_fma_f32 v57, -v31, v52, v32
	v_fma_f32 v26, -v27, v50, v28
	v_div_fmas_f32 v17, v17, v41, v49
	s_mov_b64 vcc, s[0:1]
	v_div_scale_f32 v38, s[10:11], v6, v24, v6
	v_fma_f32 v56, -v39, v48, 1.0
	v_fmac_f32_e32 v47, v55, v47
	v_mul_f32_e32 v54, v36, v46
	v_fmac_f32_e32 v52, v57, v44
	v_fma_f32 v57, -v33, v53, v34
	v_fma_f32 v27, -v29, v51, v30
	v_div_fixup_f32 v12, v17, v18, v12
	v_div_fmas_f32 v17, v26, v42, v50
	s_mov_b64 vcc, s[2:3]
	v_div_scale_f32 v40, s[12:13], v7, v25, v7
	v_fmac_f32_e32 v48, v56, v48
	v_mul_f32_e32 v55, v38, v47
	v_fmac_f32_e32 v53, v57, v45
	v_fma_f32 v57, -v35, v54, v36
	v_fma_f32 v28, -v31, v52, v32
	v_div_fixup_f32 v13, v17, v19, v13
	v_div_fmas_f32 v17, v27, v43, v51
	s_mov_b64 vcc, s[4:5]
	v_mul_f32_e32 v56, v40, v48
	v_fmac_f32_e32 v54, v57, v46
	v_fma_f32 v57, -v37, v55, v38
	v_fma_f32 v29, -v33, v53, v34
	v_div_fixup_f32 v10, v17, v20, v10
	v_div_fmas_f32 v17, v28, v44, v52
	s_mov_b64 vcc, s[6:7]
	v_fmac_f32_e32 v55, v57, v47
	v_fma_f32 v57, -v39, v56, v40
	v_fma_f32 v30, -v35, v54, v36
	v_div_fixup_f32 v11, v17, v21, v11
	v_div_fmas_f32 v17, v29, v45, v53
	s_mov_b64 vcc, s[8:9]
	v_fmac_f32_e32 v56, v57, v48
	v_fma_f32 v31, -v37, v55, v38
	v_div_fixup_f32 v8, v17, v22, v8
	v_div_fmas_f32 v17, v30, v46, v54
	s_mov_b64 vcc, s[10:11]
	v_fma_f32 v32, -v39, v56, v40
	v_div_fixup_f32 v9, v17, v23, v9
	v_div_fmas_f32 v17, v31, v47, v55
	s_mov_b64 vcc, s[12:13]
	v_div_fixup_f32 v6, v17, v24, v6
	v_div_fmas_f32 v17, v32, v48, v56
	v_div_fixup_f32 v7, v17, v25, v7
	v_cvt_f16_f32_e32 v12, v12
	v_cvt_f16_f32_e32 v13, v13
	;; [unrolled: 1-line block ×8, first 2 shown]
	v_pack_b32_f16 v7, v12, v13
	v_pack_b32_f16 v6, v10, v11
	;; [unrolled: 1-line block ×4, first 2 shown]
	global_store_dwordx4 v[4:5], v[6:9], off
	s_andn2_b64 exec, exec, s[14:15]
	s_cbranch_execnz .LBB81_2
.LBB81_3:
	s_endpgm
	.section	.rodata,"a",@progbits
	.p2align	6, 0x0
	.amdhsa_kernel _ZN4vllm17activation_kernelIN3c104HalfETnPFT_RKS3_EXadL_ZNS_17gelu_quick_kernelIS2_EES3_S5_EELb1ELb0EEEvPS3_PS4_i
		.amdhsa_group_segment_fixed_size 0
		.amdhsa_private_segment_fixed_size 0
		.amdhsa_kernarg_size 280
		.amdhsa_user_sgpr_count 6
		.amdhsa_user_sgpr_private_segment_buffer 1
		.amdhsa_user_sgpr_dispatch_ptr 0
		.amdhsa_user_sgpr_queue_ptr 0
		.amdhsa_user_sgpr_kernarg_segment_ptr 1
		.amdhsa_user_sgpr_dispatch_id 0
		.amdhsa_user_sgpr_flat_scratch_init 0
		.amdhsa_user_sgpr_kernarg_preload_length 0
		.amdhsa_user_sgpr_kernarg_preload_offset 0
		.amdhsa_user_sgpr_private_segment_size 0
		.amdhsa_uses_dynamic_stack 0
		.amdhsa_system_sgpr_private_segment_wavefront_offset 0
		.amdhsa_system_sgpr_workgroup_id_x 1
		.amdhsa_system_sgpr_workgroup_id_y 0
		.amdhsa_system_sgpr_workgroup_id_z 0
		.amdhsa_system_sgpr_workgroup_info 0
		.amdhsa_system_vgpr_workitem_id 0
		.amdhsa_next_free_vgpr 58
		.amdhsa_next_free_sgpr 25
		.amdhsa_accum_offset 60
		.amdhsa_reserve_vcc 1
		.amdhsa_reserve_flat_scratch 0
		.amdhsa_float_round_mode_32 0
		.amdhsa_float_round_mode_16_64 0
		.amdhsa_float_denorm_mode_32 3
		.amdhsa_float_denorm_mode_16_64 3
		.amdhsa_dx10_clamp 1
		.amdhsa_ieee_mode 1
		.amdhsa_fp16_overflow 0
		.amdhsa_tg_split 0
		.amdhsa_exception_fp_ieee_invalid_op 0
		.amdhsa_exception_fp_denorm_src 0
		.amdhsa_exception_fp_ieee_div_zero 0
		.amdhsa_exception_fp_ieee_overflow 0
		.amdhsa_exception_fp_ieee_underflow 0
		.amdhsa_exception_fp_ieee_inexact 0
		.amdhsa_exception_int_div_zero 0
	.end_amdhsa_kernel
	.section	.text._ZN4vllm17activation_kernelIN3c104HalfETnPFT_RKS3_EXadL_ZNS_17gelu_quick_kernelIS2_EES3_S5_EELb1ELb0EEEvPS3_PS4_i,"axG",@progbits,_ZN4vllm17activation_kernelIN3c104HalfETnPFT_RKS3_EXadL_ZNS_17gelu_quick_kernelIS2_EES3_S5_EELb1ELb0EEEvPS3_PS4_i,comdat
.Lfunc_end81:
	.size	_ZN4vllm17activation_kernelIN3c104HalfETnPFT_RKS3_EXadL_ZNS_17gelu_quick_kernelIS2_EES3_S5_EELb1ELb0EEEvPS3_PS4_i, .Lfunc_end81-_ZN4vllm17activation_kernelIN3c104HalfETnPFT_RKS3_EXadL_ZNS_17gelu_quick_kernelIS2_EES3_S5_EELb1ELb0EEEvPS3_PS4_i
                                        ; -- End function
	.section	.AMDGPU.csdata,"",@progbits
; Kernel info:
; codeLenInByte = 1668
; NumSgprs: 29
; NumVgprs: 58
; NumAgprs: 0
; TotalNumVgprs: 58
; ScratchSize: 0
; MemoryBound: 0
; FloatMode: 240
; IeeeMode: 1
; LDSByteSize: 0 bytes/workgroup (compile time only)
; SGPRBlocks: 3
; VGPRBlocks: 7
; NumSGPRsForWavesPerEU: 29
; NumVGPRsForWavesPerEU: 58
; AccumOffset: 60
; Occupancy: 8
; WaveLimiterHint : 0
; COMPUTE_PGM_RSRC2:SCRATCH_EN: 0
; COMPUTE_PGM_RSRC2:USER_SGPR: 6
; COMPUTE_PGM_RSRC2:TRAP_HANDLER: 0
; COMPUTE_PGM_RSRC2:TGID_X_EN: 1
; COMPUTE_PGM_RSRC2:TGID_Y_EN: 0
; COMPUTE_PGM_RSRC2:TGID_Z_EN: 0
; COMPUTE_PGM_RSRC2:TIDIG_COMP_CNT: 0
; COMPUTE_PGM_RSRC3_GFX90A:ACCUM_OFFSET: 14
; COMPUTE_PGM_RSRC3_GFX90A:TG_SPLIT: 0
	.section	.text._ZN4vllm17activation_kernelIN3c108BFloat16ETnPFT_RKS3_EXadL_ZNS_17gelu_quick_kernelIS2_EES3_S5_EELb1ELb0EEEvPS3_PS4_i,"axG",@progbits,_ZN4vllm17activation_kernelIN3c108BFloat16ETnPFT_RKS3_EXadL_ZNS_17gelu_quick_kernelIS2_EES3_S5_EELb1ELb0EEEvPS3_PS4_i,comdat
	.protected	_ZN4vllm17activation_kernelIN3c108BFloat16ETnPFT_RKS3_EXadL_ZNS_17gelu_quick_kernelIS2_EES3_S5_EELb1ELb0EEEvPS3_PS4_i ; -- Begin function _ZN4vllm17activation_kernelIN3c108BFloat16ETnPFT_RKS3_EXadL_ZNS_17gelu_quick_kernelIS2_EES3_S5_EELb1ELb0EEEvPS3_PS4_i
	.globl	_ZN4vllm17activation_kernelIN3c108BFloat16ETnPFT_RKS3_EXadL_ZNS_17gelu_quick_kernelIS2_EES3_S5_EELb1ELb0EEEvPS3_PS4_i
	.p2align	8
	.type	_ZN4vllm17activation_kernelIN3c108BFloat16ETnPFT_RKS3_EXadL_ZNS_17gelu_quick_kernelIS2_EES3_S5_EELb1ELb0EEEvPS3_PS4_i,@function
_ZN4vllm17activation_kernelIN3c108BFloat16ETnPFT_RKS3_EXadL_ZNS_17gelu_quick_kernelIS2_EES3_S5_EELb1ELb0EEEvPS3_PS4_i: ; @_ZN4vllm17activation_kernelIN3c108BFloat16ETnPFT_RKS3_EXadL_ZNS_17gelu_quick_kernelIS2_EES3_S5_EELb1ELb0EEEvPS3_PS4_i
; %bb.0:
	s_load_dword s0, s[4:5], 0x10
	s_waitcnt lgkmcnt(0)
	s_ashr_i32 s1, s0, 31
	s_lshr_b32 s1, s1, 29
	s_add_i32 s1, s0, s1
	s_ashr_i32 s21, s1, 3
	v_cmp_gt_i32_e32 vcc, s21, v0
	s_and_saveexec_b64 s[2:3], vcc
	s_cbranch_execz .LBB82_8
; %bb.1:
	s_load_dword s1, s[4:5], 0x24
	s_load_dwordx4 s[16:19], s[4:5], 0x0
	s_mul_i32 s2, s6, s0
	s_mov_b32 s3, 0
	s_waitcnt lgkmcnt(0)
	s_and_b32 s22, s1, 0xffff
	v_cvt_f32_u32_e32 v1, s22
	v_add_u32_e32 v2, s22, v0
	v_mov_b32_e32 v3, s22
	v_cmp_gt_i32_e32 vcc, s21, v2
	v_rcp_iflag_f32_e32 v1, v1
	s_cmp_eq_u32 s22, 1
	v_max_i32_e32 v4, s21, v2
	v_addc_co_u32_e64 v2, s[0:1], v0, v3, vcc
	v_mul_f32_e32 v1, 0x4f7ffffe, v1
	v_cvt_u32_f32_e32 v1, v1
	s_cselect_b64 s[4:5], -1, 0
	s_sub_i32 s0, 0, s22
	v_sub_u32_e32 v2, v4, v2
	v_mul_lo_u32 v3, s0, v1
	v_mul_hi_u32 v3, v1, v3
	v_add_u32_e32 v1, v1, v3
	v_mul_hi_u32 v1, v2, v1
	v_mul_lo_u32 v3, v1, s22
	v_sub_u32_e32 v2, v2, v3
	v_add_u32_e32 v3, 1, v1
	v_cmp_le_u32_e64 s[0:1], s22, v2
	v_cndmask_b32_e64 v1, v1, v3, s[0:1]
	v_subrev_u32_e32 v3, s22, v2
	v_cndmask_b32_e64 v2, v2, v3, s[0:1]
	v_add_u32_e32 v3, 1, v1
	v_cmp_le_u32_e64 s[0:1], s22, v2
	v_cndmask_b32_e64 v1, v1, v3, s[0:1]
	v_addc_co_u32_e32 v18, vcc, 1, v1, vcc
	v_cmp_lt_u32_e32 vcc, 1, v18
	s_and_b64 s[6:7], vcc, s[4:5]
	s_mov_b64 s[4:5], -1
	s_and_saveexec_b64 s[0:1], s[6:7]
	s_cbranch_execz .LBB82_5
; %bb.2:
	s_lshl_b64 s[4:5], s[2:3], 1
	s_add_u32 s7, s18, s4
	s_addc_u32 s6, s19, s5
	s_add_u32 s8, s16, s4
	s_addc_u32 s13, s17, s5
	v_and_b32_e32 v19, -2, v18
	v_add_u32_e32 v1, 1, v0
	s_mov_b64 s[4:5], 0
	v_mov_b32_e32 v20, s6
	s_mov_b32 s6, 0xbfd9db23
	s_mov_b32 s9, 0x3fb8aa3b
	;; [unrolled: 1-line block ×4, first 2 shown]
	v_mov_b32_e32 v21, 0x7f800000
	s_movk_i32 s12, 0x7fff
	v_mov_b32_e32 v22, 0x7fc0
	v_mov_b32_e32 v23, s13
	s_mov_b32 s13, 0x5040100
	v_mov_b32_e32 v11, 0
	v_mov_b32_e32 v24, v19
	v_pk_mov_b32 v[12:13], v[0:1], v[0:1] op_sel:[0,1]
.LBB82_3:                               ; =>This Inner Loop Header: Depth=1
	v_mov_b32_e32 v10, v12
	v_lshlrev_b64 v[14:15], 4, v[10:11]
	v_add_co_u32_e32 v26, vcc, s7, v14
	v_mov_b32_e32 v10, v13
	v_addc_co_u32_e32 v27, vcc, v20, v15, vcc
	v_lshlrev_b64 v[16:17], 4, v[10:11]
	v_add_co_u32_e32 v28, vcc, s7, v16
	v_addc_co_u32_e32 v29, vcc, v20, v17, vcc
	global_load_dwordx4 v[2:5], v[26:27], off
	global_load_dwordx4 v[6:9], v[28:29], off
	v_add_u32_e32 v24, -2, v24
	v_add_u32_e32 v13, 2, v13
	v_add_u32_e32 v12, 2, v12
	s_waitcnt vmcnt(1)
	v_lshlrev_b32_e32 v26, 16, v2
	s_waitcnt vmcnt(0)
	v_lshlrev_b32_e32 v27, 16, v6
	v_pk_mul_f32 v[28:29], v[26:27], s[6:7] op_sel_hi:[1,0]
	v_mul_f32_e32 v1, 0x3fb8aa3b, v29
	v_fma_f32 v10, v29, s9, -v1
	v_rndne_f32_e32 v25, v1
	v_fmac_f32_e32 v10, 0x32a5705f, v29
	v_sub_f32_e32 v1, v1, v25
	v_add_f32_e32 v1, v1, v10
	v_exp_f32_e32 v1, v1
	v_cvt_i32_f32_e32 v10, v25
	v_cmp_ngt_f32_e32 vcc, s10, v29
	v_ldexp_f32 v1, v1, v10
	v_cndmask_b32_e32 v1, 0, v1, vcc
	v_cmp_nlt_f32_e32 vcc, s11, v29
	v_cndmask_b32_e32 v29, v21, v1, vcc
	v_mul_f32_e32 v1, 0x3fb8aa3b, v28
	v_fma_f32 v10, v28, s9, -v1
	v_rndne_f32_e32 v25, v1
	v_fmac_f32_e32 v10, 0x32a5705f, v28
	v_sub_f32_e32 v1, v1, v25
	v_add_f32_e32 v1, v1, v10
	v_exp_f32_e32 v1, v1
	v_cvt_i32_f32_e32 v10, v25
	v_cmp_ngt_f32_e32 vcc, s10, v28
	v_ldexp_f32 v1, v1, v10
	v_cndmask_b32_e32 v1, 0, v1, vcc
	v_cmp_nlt_f32_e32 vcc, s11, v28
	v_cndmask_b32_e32 v28, v21, v1, vcc
	v_pk_add_f32 v[28:29], v[28:29], 1.0 op_sel_hi:[1,0]
	v_div_scale_f32 v1, s[14:15], v28, v28, v26
	v_rcp_f32_e32 v10, v1
	v_fma_f32 v25, -v1, v10, 1.0
	v_fmac_f32_e32 v10, v25, v10
	v_div_scale_f32 v25, vcc, v26, v28, v26
	v_mul_f32_e32 v30, v25, v10
	v_fma_f32 v31, -v1, v30, v25
	v_fmac_f32_e32 v30, v31, v10
	v_fma_f32 v1, -v1, v30, v25
	v_div_fmas_f32 v1, v1, v10, v30
	v_div_fixup_f32 v10, v1, v28, v26
	v_div_scale_f32 v1, s[14:15], v29, v29, v27
	v_rcp_f32_e32 v25, v1
	v_fma_f32 v26, -v1, v25, 1.0
	v_fmac_f32_e32 v25, v26, v25
	v_div_scale_f32 v26, vcc, v27, v29, v27
	v_mul_f32_e32 v28, v26, v25
	v_fma_f32 v30, -v1, v28, v26
	v_fmac_f32_e32 v28, v30, v25
	v_fma_f32 v1, -v1, v28, v26
	v_div_fmas_f32 v1, v1, v25, v28
	v_div_fixup_f32 v1, v1, v29, v27
	v_bfe_u32 v25, v1, 16, 1
	v_bfe_u32 v26, v10, 16, 1
	v_add3_u32 v25, v1, v25, s12
	v_add3_u32 v26, v10, v26, s12
	v_lshrrev_b32_e32 v25, 16, v25
	v_cmp_o_f32_e32 vcc, v1, v1
	v_lshrrev_b32_e32 v26, 16, v26
	v_cndmask_b32_e32 v1, v22, v25, vcc
	v_cmp_o_f32_e32 vcc, v10, v10
	v_cndmask_b32_e32 v10, v22, v26, vcc
	v_and_b32_e32 v27, 0xffff0000, v6
	v_and_b32_e32 v26, 0xffff0000, v2
	v_pk_mul_f32 v[28:29], v[26:27], s[6:7] op_sel_hi:[1,0]
	v_mul_f32_e32 v2, 0x3fb8aa3b, v29
	v_fma_f32 v6, v29, s9, -v2
	v_rndne_f32_e32 v25, v2
	v_fmac_f32_e32 v6, 0x32a5705f, v29
	v_sub_f32_e32 v2, v2, v25
	v_add_f32_e32 v2, v2, v6
	v_exp_f32_e32 v2, v2
	v_cvt_i32_f32_e32 v6, v25
	v_cmp_ngt_f32_e32 vcc, s10, v29
	v_ldexp_f32 v2, v2, v6
	v_cndmask_b32_e32 v2, 0, v2, vcc
	v_cmp_nlt_f32_e32 vcc, s11, v29
	v_cndmask_b32_e32 v29, v21, v2, vcc
	v_mul_f32_e32 v2, 0x3fb8aa3b, v28
	v_fma_f32 v6, v28, s9, -v2
	v_rndne_f32_e32 v25, v2
	v_fmac_f32_e32 v6, 0x32a5705f, v28
	v_sub_f32_e32 v2, v2, v25
	v_add_f32_e32 v2, v2, v6
	v_exp_f32_e32 v2, v2
	v_cvt_i32_f32_e32 v6, v25
	v_cmp_ngt_f32_e32 vcc, s10, v28
	v_ldexp_f32 v2, v2, v6
	v_cndmask_b32_e32 v2, 0, v2, vcc
	v_cmp_nlt_f32_e32 vcc, s11, v28
	v_cndmask_b32_e32 v28, v21, v2, vcc
	v_pk_add_f32 v[28:29], v[28:29], 1.0 op_sel_hi:[1,0]
	v_div_scale_f32 v2, s[14:15], v28, v28, v26
	v_rcp_f32_e32 v6, v2
	v_fma_f32 v25, -v2, v6, 1.0
	v_fmac_f32_e32 v6, v25, v6
	v_div_scale_f32 v25, vcc, v26, v28, v26
	v_mul_f32_e32 v30, v25, v6
	v_fma_f32 v31, -v2, v30, v25
	v_fmac_f32_e32 v30, v31, v6
	v_fma_f32 v2, -v2, v30, v25
	v_div_fmas_f32 v2, v2, v6, v30
	v_div_fixup_f32 v6, v2, v28, v26
	v_div_scale_f32 v2, s[14:15], v29, v29, v27
	v_rcp_f32_e32 v25, v2
	v_fma_f32 v26, -v2, v25, 1.0
	v_fmac_f32_e32 v25, v26, v25
	v_div_scale_f32 v26, vcc, v27, v29, v27
	v_mul_f32_e32 v28, v26, v25
	v_fma_f32 v30, -v2, v28, v26
	v_fmac_f32_e32 v28, v30, v25
	v_fma_f32 v2, -v2, v28, v26
	v_div_fmas_f32 v2, v2, v25, v28
	v_div_fixup_f32 v2, v2, v29, v27
	v_bfe_u32 v25, v2, 16, 1
	v_bfe_u32 v26, v6, 16, 1
	v_add3_u32 v25, v2, v25, s12
	v_add3_u32 v26, v6, v26, s12
	v_lshrrev_b32_e32 v25, 16, v25
	v_cmp_o_f32_e32 vcc, v2, v2
	v_lshrrev_b32_e32 v26, 16, v26
	v_cndmask_b32_e32 v2, v22, v25, vcc
	v_cmp_o_f32_e32 vcc, v6, v6
	v_cndmask_b32_e32 v6, v22, v26, vcc
	v_lshlrev_b32_e32 v27, 16, v7
	v_lshlrev_b32_e32 v26, 16, v3
	v_pk_mul_f32 v[28:29], v[26:27], s[6:7] op_sel_hi:[1,0]
	v_mul_f32_e32 v25, 0x3fb8aa3b, v29
	v_fma_f32 v30, v29, s9, -v25
	v_rndne_f32_e32 v31, v25
	v_fmac_f32_e32 v30, 0x32a5705f, v29
	v_sub_f32_e32 v25, v25, v31
	v_add_f32_e32 v25, v25, v30
	v_exp_f32_e32 v25, v25
	v_cvt_i32_f32_e32 v30, v31
	v_cmp_ngt_f32_e32 vcc, s10, v29
	v_perm_b32 v6, v6, v10, s13
	v_perm_b32 v2, v2, v1, s13
	v_ldexp_f32 v25, v25, v30
	v_cndmask_b32_e32 v25, 0, v25, vcc
	v_cmp_nlt_f32_e32 vcc, s11, v29
	v_cndmask_b32_e32 v29, v21, v25, vcc
	v_mul_f32_e32 v25, 0x3fb8aa3b, v28
	v_fma_f32 v30, v28, s9, -v25
	v_rndne_f32_e32 v31, v25
	v_fmac_f32_e32 v30, 0x32a5705f, v28
	v_sub_f32_e32 v25, v25, v31
	v_add_f32_e32 v25, v25, v30
	v_exp_f32_e32 v25, v25
	v_cvt_i32_f32_e32 v30, v31
	v_cmp_ngt_f32_e32 vcc, s10, v28
	v_ldexp_f32 v25, v25, v30
	v_cndmask_b32_e32 v25, 0, v25, vcc
	v_cmp_nlt_f32_e32 vcc, s11, v28
	v_cndmask_b32_e32 v28, v21, v25, vcc
	v_pk_add_f32 v[28:29], v[28:29], 1.0 op_sel_hi:[1,0]
	v_div_scale_f32 v25, s[14:15], v28, v28, v26
	v_rcp_f32_e32 v30, v25
	v_fma_f32 v31, -v25, v30, 1.0
	v_fmac_f32_e32 v30, v31, v30
	v_div_scale_f32 v31, vcc, v26, v28, v26
	v_mul_f32_e32 v32, v31, v30
	v_fma_f32 v33, -v25, v32, v31
	v_fmac_f32_e32 v32, v33, v30
	v_fma_f32 v25, -v25, v32, v31
	v_div_fmas_f32 v25, v25, v30, v32
	v_div_fixup_f32 v26, v25, v28, v26
	v_div_scale_f32 v25, s[14:15], v29, v29, v27
	v_rcp_f32_e32 v28, v25
	v_fma_f32 v30, -v25, v28, 1.0
	v_fmac_f32_e32 v28, v30, v28
	v_div_scale_f32 v30, vcc, v27, v29, v27
	v_mul_f32_e32 v31, v30, v28
	v_fma_f32 v32, -v25, v31, v30
	v_fmac_f32_e32 v31, v32, v28
	v_fma_f32 v25, -v25, v31, v30
	v_div_fmas_f32 v25, v25, v28, v31
	v_div_fixup_f32 v25, v25, v29, v27
	v_bfe_u32 v27, v25, 16, 1
	v_bfe_u32 v28, v26, 16, 1
	v_add3_u32 v27, v25, v27, s12
	v_add3_u32 v28, v26, v28, s12
	v_lshrrev_b32_e32 v27, 16, v27
	v_cmp_o_f32_e32 vcc, v25, v25
	v_lshrrev_b32_e32 v28, 16, v28
	v_cndmask_b32_e32 v25, v22, v27, vcc
	v_cmp_o_f32_e32 vcc, v26, v26
	v_cndmask_b32_e32 v26, v22, v28, vcc
	v_and_b32_e32 v29, 0xffff0000, v7
	v_and_b32_e32 v28, 0xffff0000, v3
	v_pk_mul_f32 v[30:31], v[28:29], s[6:7] op_sel_hi:[1,0]
	v_mul_f32_e32 v3, 0x3fb8aa3b, v31
	v_fma_f32 v7, v31, s9, -v3
	v_rndne_f32_e32 v27, v3
	v_fmac_f32_e32 v7, 0x32a5705f, v31
	v_sub_f32_e32 v3, v3, v27
	v_add_f32_e32 v3, v3, v7
	v_exp_f32_e32 v3, v3
	v_cvt_i32_f32_e32 v7, v27
	v_cmp_ngt_f32_e32 vcc, s10, v31
	v_ldexp_f32 v3, v3, v7
	v_cndmask_b32_e32 v3, 0, v3, vcc
	v_cmp_nlt_f32_e32 vcc, s11, v31
	v_cndmask_b32_e32 v31, v21, v3, vcc
	v_mul_f32_e32 v3, 0x3fb8aa3b, v30
	v_fma_f32 v7, v30, s9, -v3
	v_rndne_f32_e32 v27, v3
	v_fmac_f32_e32 v7, 0x32a5705f, v30
	v_sub_f32_e32 v3, v3, v27
	v_add_f32_e32 v3, v3, v7
	v_exp_f32_e32 v3, v3
	v_cvt_i32_f32_e32 v7, v27
	v_cmp_ngt_f32_e32 vcc, s10, v30
	v_ldexp_f32 v3, v3, v7
	v_cndmask_b32_e32 v3, 0, v3, vcc
	v_cmp_nlt_f32_e32 vcc, s11, v30
	v_cndmask_b32_e32 v30, v21, v3, vcc
	v_pk_add_f32 v[30:31], v[30:31], 1.0 op_sel_hi:[1,0]
	v_div_scale_f32 v3, s[14:15], v30, v30, v28
	v_rcp_f32_e32 v7, v3
	v_fma_f32 v27, -v3, v7, 1.0
	v_fmac_f32_e32 v7, v27, v7
	v_div_scale_f32 v27, vcc, v28, v30, v28
	v_mul_f32_e32 v32, v27, v7
	v_fma_f32 v33, -v3, v32, v27
	v_fmac_f32_e32 v32, v33, v7
	v_fma_f32 v3, -v3, v32, v27
	v_div_fmas_f32 v3, v3, v7, v32
	v_div_fixup_f32 v7, v3, v30, v28
	v_div_scale_f32 v3, s[14:15], v31, v31, v29
	v_rcp_f32_e32 v27, v3
	v_fma_f32 v28, -v3, v27, 1.0
	v_fmac_f32_e32 v27, v28, v27
	v_div_scale_f32 v28, vcc, v29, v31, v29
	v_mul_f32_e32 v30, v28, v27
	v_fma_f32 v32, -v3, v30, v28
	v_fmac_f32_e32 v30, v32, v27
	v_fma_f32 v3, -v3, v30, v28
	v_div_fmas_f32 v3, v3, v27, v30
	v_div_fixup_f32 v3, v3, v31, v29
	v_bfe_u32 v27, v3, 16, 1
	v_bfe_u32 v28, v7, 16, 1
	v_add3_u32 v27, v3, v27, s12
	v_add3_u32 v28, v7, v28, s12
	v_lshrrev_b32_e32 v27, 16, v27
	v_cmp_o_f32_e32 vcc, v3, v3
	v_lshrrev_b32_e32 v28, 16, v28
	v_cndmask_b32_e32 v3, v22, v27, vcc
	v_cmp_o_f32_e32 vcc, v7, v7
	v_cndmask_b32_e32 v7, v22, v28, vcc
	v_lshlrev_b32_e32 v29, 16, v8
	v_lshlrev_b32_e32 v28, 16, v4
	v_pk_mul_f32 v[30:31], v[28:29], s[6:7] op_sel_hi:[1,0]
	v_mul_f32_e32 v27, 0x3fb8aa3b, v31
	v_fma_f32 v32, v31, s9, -v27
	v_rndne_f32_e32 v33, v27
	v_fmac_f32_e32 v32, 0x32a5705f, v31
	v_sub_f32_e32 v27, v27, v33
	v_add_f32_e32 v27, v27, v32
	v_exp_f32_e32 v27, v27
	v_cvt_i32_f32_e32 v32, v33
	v_cmp_ngt_f32_e32 vcc, s10, v31
	v_perm_b32 v7, v7, v26, s13
	v_perm_b32 v3, v3, v25, s13
	v_ldexp_f32 v27, v27, v32
	v_cndmask_b32_e32 v27, 0, v27, vcc
	v_cmp_nlt_f32_e32 vcc, s11, v31
	v_cndmask_b32_e32 v31, v21, v27, vcc
	v_mul_f32_e32 v27, 0x3fb8aa3b, v30
	v_fma_f32 v32, v30, s9, -v27
	v_rndne_f32_e32 v33, v27
	v_fmac_f32_e32 v32, 0x32a5705f, v30
	v_sub_f32_e32 v27, v27, v33
	v_add_f32_e32 v27, v27, v32
	v_exp_f32_e32 v27, v27
	v_cvt_i32_f32_e32 v32, v33
	v_cmp_ngt_f32_e32 vcc, s10, v30
	v_ldexp_f32 v27, v27, v32
	v_cndmask_b32_e32 v27, 0, v27, vcc
	v_cmp_nlt_f32_e32 vcc, s11, v30
	v_cndmask_b32_e32 v30, v21, v27, vcc
	v_pk_add_f32 v[30:31], v[30:31], 1.0 op_sel_hi:[1,0]
	v_div_scale_f32 v27, s[14:15], v30, v30, v28
	v_rcp_f32_e32 v32, v27
	v_fma_f32 v33, -v27, v32, 1.0
	v_fmac_f32_e32 v32, v33, v32
	v_div_scale_f32 v33, vcc, v28, v30, v28
	v_mul_f32_e32 v34, v33, v32
	v_fma_f32 v35, -v27, v34, v33
	v_fmac_f32_e32 v34, v35, v32
	v_fma_f32 v27, -v27, v34, v33
	v_div_fmas_f32 v27, v27, v32, v34
	v_div_fixup_f32 v28, v27, v30, v28
	v_div_scale_f32 v27, s[14:15], v31, v31, v29
	v_rcp_f32_e32 v30, v27
	v_fma_f32 v32, -v27, v30, 1.0
	v_fmac_f32_e32 v30, v32, v30
	v_div_scale_f32 v32, vcc, v29, v31, v29
	v_mul_f32_e32 v33, v32, v30
	v_fma_f32 v34, -v27, v33, v32
	v_fmac_f32_e32 v33, v34, v30
	v_fma_f32 v27, -v27, v33, v32
	v_div_fmas_f32 v27, v27, v30, v33
	v_div_fixup_f32 v27, v27, v31, v29
	v_bfe_u32 v29, v27, 16, 1
	v_bfe_u32 v30, v28, 16, 1
	v_add3_u32 v29, v27, v29, s12
	v_add3_u32 v30, v28, v30, s12
	v_lshrrev_b32_e32 v29, 16, v29
	v_cmp_o_f32_e32 vcc, v27, v27
	v_lshrrev_b32_e32 v30, 16, v30
	v_cndmask_b32_e32 v27, v22, v29, vcc
	v_cmp_o_f32_e32 vcc, v28, v28
	v_cndmask_b32_e32 v28, v22, v30, vcc
	v_and_b32_e32 v31, 0xffff0000, v8
	v_and_b32_e32 v30, 0xffff0000, v4
	v_pk_mul_f32 v[32:33], v[30:31], s[6:7] op_sel_hi:[1,0]
	v_mul_f32_e32 v4, 0x3fb8aa3b, v33
	v_fma_f32 v8, v33, s9, -v4
	v_rndne_f32_e32 v29, v4
	v_fmac_f32_e32 v8, 0x32a5705f, v33
	v_sub_f32_e32 v4, v4, v29
	v_add_f32_e32 v4, v4, v8
	v_exp_f32_e32 v4, v4
	v_cvt_i32_f32_e32 v8, v29
	v_cmp_ngt_f32_e32 vcc, s10, v33
	v_ldexp_f32 v4, v4, v8
	v_cndmask_b32_e32 v4, 0, v4, vcc
	v_cmp_nlt_f32_e32 vcc, s11, v33
	v_cndmask_b32_e32 v33, v21, v4, vcc
	v_mul_f32_e32 v4, 0x3fb8aa3b, v32
	v_fma_f32 v8, v32, s9, -v4
	v_rndne_f32_e32 v29, v4
	v_fmac_f32_e32 v8, 0x32a5705f, v32
	v_sub_f32_e32 v4, v4, v29
	v_add_f32_e32 v4, v4, v8
	v_exp_f32_e32 v4, v4
	v_cvt_i32_f32_e32 v8, v29
	v_cmp_ngt_f32_e32 vcc, s10, v32
	v_ldexp_f32 v4, v4, v8
	v_cndmask_b32_e32 v4, 0, v4, vcc
	v_cmp_nlt_f32_e32 vcc, s11, v32
	v_cndmask_b32_e32 v32, v21, v4, vcc
	v_pk_add_f32 v[32:33], v[32:33], 1.0 op_sel_hi:[1,0]
	v_div_scale_f32 v4, s[14:15], v32, v32, v30
	v_rcp_f32_e32 v8, v4
	v_fma_f32 v29, -v4, v8, 1.0
	v_fmac_f32_e32 v8, v29, v8
	v_div_scale_f32 v29, vcc, v30, v32, v30
	v_mul_f32_e32 v34, v29, v8
	v_fma_f32 v35, -v4, v34, v29
	v_fmac_f32_e32 v34, v35, v8
	v_fma_f32 v4, -v4, v34, v29
	v_div_fmas_f32 v4, v4, v8, v34
	v_div_fixup_f32 v8, v4, v32, v30
	v_div_scale_f32 v4, s[14:15], v33, v33, v31
	v_rcp_f32_e32 v29, v4
	v_fma_f32 v30, -v4, v29, 1.0
	v_fmac_f32_e32 v29, v30, v29
	v_div_scale_f32 v30, vcc, v31, v33, v31
	v_mul_f32_e32 v32, v30, v29
	v_fma_f32 v34, -v4, v32, v30
	v_fmac_f32_e32 v32, v34, v29
	v_fma_f32 v4, -v4, v32, v30
	v_div_fmas_f32 v4, v4, v29, v32
	v_div_fixup_f32 v4, v4, v33, v31
	v_bfe_u32 v29, v4, 16, 1
	v_bfe_u32 v30, v8, 16, 1
	v_add3_u32 v29, v4, v29, s12
	v_add3_u32 v30, v8, v30, s12
	v_lshrrev_b32_e32 v29, 16, v29
	v_cmp_o_f32_e32 vcc, v4, v4
	v_lshrrev_b32_e32 v30, 16, v30
	v_cndmask_b32_e32 v4, v22, v29, vcc
	v_cmp_o_f32_e32 vcc, v8, v8
	v_cndmask_b32_e32 v8, v22, v30, vcc
	v_lshlrev_b32_e32 v31, 16, v9
	v_lshlrev_b32_e32 v30, 16, v5
	v_pk_mul_f32 v[32:33], v[30:31], s[6:7] op_sel_hi:[1,0]
	v_mul_f32_e32 v29, 0x3fb8aa3b, v33
	v_fma_f32 v34, v33, s9, -v29
	v_rndne_f32_e32 v35, v29
	v_fmac_f32_e32 v34, 0x32a5705f, v33
	v_sub_f32_e32 v29, v29, v35
	v_add_f32_e32 v29, v29, v34
	v_exp_f32_e32 v29, v29
	v_cvt_i32_f32_e32 v34, v35
	v_cmp_ngt_f32_e32 vcc, s10, v33
	v_perm_b32 v8, v8, v28, s13
	v_perm_b32 v4, v4, v27, s13
	v_ldexp_f32 v29, v29, v34
	v_cndmask_b32_e32 v29, 0, v29, vcc
	v_cmp_nlt_f32_e32 vcc, s11, v33
	v_cndmask_b32_e32 v33, v21, v29, vcc
	v_mul_f32_e32 v29, 0x3fb8aa3b, v32
	v_fma_f32 v34, v32, s9, -v29
	v_rndne_f32_e32 v35, v29
	v_fmac_f32_e32 v34, 0x32a5705f, v32
	v_sub_f32_e32 v29, v29, v35
	v_add_f32_e32 v29, v29, v34
	v_exp_f32_e32 v29, v29
	v_cvt_i32_f32_e32 v34, v35
	v_cmp_ngt_f32_e32 vcc, s10, v32
	v_ldexp_f32 v29, v29, v34
	v_cndmask_b32_e32 v29, 0, v29, vcc
	v_cmp_nlt_f32_e32 vcc, s11, v32
	v_cndmask_b32_e32 v32, v21, v29, vcc
	v_pk_add_f32 v[32:33], v[32:33], 1.0 op_sel_hi:[1,0]
	v_div_scale_f32 v29, s[14:15], v32, v32, v30
	v_rcp_f32_e32 v34, v29
	v_fma_f32 v35, -v29, v34, 1.0
	v_fmac_f32_e32 v34, v35, v34
	v_div_scale_f32 v35, vcc, v30, v32, v30
	v_mul_f32_e32 v36, v35, v34
	v_fma_f32 v37, -v29, v36, v35
	v_fmac_f32_e32 v36, v37, v34
	v_fma_f32 v29, -v29, v36, v35
	v_div_fmas_f32 v29, v29, v34, v36
	v_div_fixup_f32 v30, v29, v32, v30
	v_div_scale_f32 v29, s[14:15], v33, v33, v31
	v_rcp_f32_e32 v32, v29
	v_fma_f32 v34, -v29, v32, 1.0
	v_fmac_f32_e32 v32, v34, v32
	v_div_scale_f32 v34, vcc, v31, v33, v31
	v_mul_f32_e32 v35, v34, v32
	v_fma_f32 v36, -v29, v35, v34
	v_fmac_f32_e32 v35, v36, v32
	v_fma_f32 v29, -v29, v35, v34
	v_div_fmas_f32 v29, v29, v32, v35
	v_div_fixup_f32 v29, v29, v33, v31
	v_bfe_u32 v31, v29, 16, 1
	v_bfe_u32 v32, v30, 16, 1
	v_add3_u32 v31, v29, v31, s12
	v_add3_u32 v32, v30, v32, s12
	v_lshrrev_b32_e32 v31, 16, v31
	v_cmp_o_f32_e32 vcc, v29, v29
	v_lshrrev_b32_e32 v32, 16, v32
	v_cndmask_b32_e32 v29, v22, v31, vcc
	v_cmp_o_f32_e32 vcc, v30, v30
	v_cndmask_b32_e32 v30, v22, v32, vcc
	v_and_b32_e32 v33, 0xffff0000, v9
	v_and_b32_e32 v32, 0xffff0000, v5
	v_pk_mul_f32 v[34:35], v[32:33], s[6:7] op_sel_hi:[1,0]
	v_mul_f32_e32 v5, 0x3fb8aa3b, v35
	v_fma_f32 v9, v35, s9, -v5
	v_rndne_f32_e32 v31, v5
	v_fmac_f32_e32 v9, 0x32a5705f, v35
	v_sub_f32_e32 v5, v5, v31
	v_add_f32_e32 v5, v5, v9
	v_exp_f32_e32 v5, v5
	v_cvt_i32_f32_e32 v9, v31
	v_cmp_ngt_f32_e32 vcc, s10, v35
	v_ldexp_f32 v5, v5, v9
	v_cndmask_b32_e32 v5, 0, v5, vcc
	v_cmp_nlt_f32_e32 vcc, s11, v35
	v_cndmask_b32_e32 v35, v21, v5, vcc
	v_mul_f32_e32 v5, 0x3fb8aa3b, v34
	v_fma_f32 v9, v34, s9, -v5
	v_rndne_f32_e32 v31, v5
	v_fmac_f32_e32 v9, 0x32a5705f, v34
	v_sub_f32_e32 v5, v5, v31
	v_add_f32_e32 v5, v5, v9
	v_exp_f32_e32 v5, v5
	v_cvt_i32_f32_e32 v9, v31
	v_cmp_ngt_f32_e32 vcc, s10, v34
	v_ldexp_f32 v5, v5, v9
	v_cndmask_b32_e32 v5, 0, v5, vcc
	v_cmp_nlt_f32_e32 vcc, s11, v34
	v_cndmask_b32_e32 v34, v21, v5, vcc
	v_pk_add_f32 v[34:35], v[34:35], 1.0 op_sel_hi:[1,0]
	v_div_scale_f32 v5, s[14:15], v34, v34, v32
	v_rcp_f32_e32 v9, v5
	v_fma_f32 v31, -v5, v9, 1.0
	v_fmac_f32_e32 v9, v31, v9
	v_div_scale_f32 v31, vcc, v32, v34, v32
	v_mul_f32_e32 v36, v31, v9
	v_fma_f32 v37, -v5, v36, v31
	v_fmac_f32_e32 v36, v37, v9
	v_fma_f32 v5, -v5, v36, v31
	v_div_fmas_f32 v5, v5, v9, v36
	v_div_fixup_f32 v9, v5, v34, v32
	v_div_scale_f32 v5, s[14:15], v35, v35, v33
	v_rcp_f32_e32 v31, v5
	v_fma_f32 v32, -v5, v31, 1.0
	v_fmac_f32_e32 v31, v32, v31
	v_div_scale_f32 v32, vcc, v33, v35, v33
	v_mul_f32_e32 v34, v32, v31
	v_fma_f32 v36, -v5, v34, v32
	v_fmac_f32_e32 v34, v36, v31
	v_fma_f32 v5, -v5, v34, v32
	v_div_fmas_f32 v5, v5, v31, v34
	v_div_fixup_f32 v5, v5, v35, v33
	v_bfe_u32 v31, v5, 16, 1
	v_bfe_u32 v32, v9, 16, 1
	v_add3_u32 v31, v5, v31, s12
	v_add3_u32 v32, v9, v32, s12
	v_lshrrev_b32_e32 v31, 16, v31
	v_cmp_o_f32_e32 vcc, v5, v5
	v_lshrrev_b32_e32 v32, 16, v32
	v_cndmask_b32_e32 v5, v22, v31, vcc
	v_cmp_o_f32_e32 vcc, v9, v9
	v_cndmask_b32_e32 v9, v22, v32, vcc
	v_add_co_u32_e32 v14, vcc, s8, v14
	v_addc_co_u32_e32 v15, vcc, v23, v15, vcc
	v_add_co_u32_e32 v16, vcc, s8, v16
	v_addc_co_u32_e32 v17, vcc, v23, v17, vcc
	v_cmp_eq_u32_e32 vcc, 0, v24
	v_perm_b32 v9, v9, v30, s13
	v_perm_b32 v5, v5, v29, s13
	s_or_b64 s[4:5], vcc, s[4:5]
	global_store_dwordx4 v[14:15], v[6:9], off
	global_store_dwordx4 v[16:17], v[2:5], off
	s_andn2_b64 exec, exec, s[4:5]
	s_cbranch_execnz .LBB82_3
; %bb.4:
	s_or_b64 exec, exec, s[4:5]
	v_cmp_ne_u32_e32 vcc, v18, v19
	v_add_u32_e32 v0, v0, v19
	s_orn2_b64 s[4:5], vcc, exec
.LBB82_5:
	s_or_b64 exec, exec, s[0:1]
	s_and_b64 exec, exec, s[4:5]
	s_cbranch_execz .LBB82_8
; %bb.6:
	v_mov_b32_e32 v1, 0
	s_lshl_b64 s[0:1], s[2:3], 1
	s_lshl_b32 s23, s22, 4
	v_lshlrev_b64 v[2:3], 4, v[0:1]
	s_add_u32 s24, s18, 8
	s_mov_b32 s4, 0
	v_mov_b32_e32 v1, s1
	v_add_co_u32_e32 v6, vcc, s0, v2
	s_addc_u32 s0, s19, 0
	v_addc_co_u32_e32 v1, vcc, v3, v1, vcc
	s_mov_b64 s[18:19], 0
	v_mov_b32_e32 v7, s0
	v_mov_b32_e32 v20, s17
	s_mov_b32 s20, 0xbfd9db23
	s_mov_b32 s17, 0x3fb8aa3b
	;; [unrolled: 1-line block ×4, first 2 shown]
	v_mov_b32_e32 v21, 0x7f800000
	s_movk_i32 s27, 0x7fff
	v_mov_b32_e32 v22, 0x7fc0
	s_mov_b32 s28, 0x5040100
	v_mov_b32_e32 v23, s4
.LBB82_7:                               ; =>This Inner Loop Header: Depth=1
	v_add_co_u32_e32 v2, vcc, s24, v6
	v_addc_co_u32_e32 v3, vcc, v7, v1, vcc
	global_load_dwordx4 v[2:5], v[2:3], off offset:-8
	v_add_u32_e32 v0, s22, v0
	s_waitcnt vmcnt(0)
	v_and_b32_e32 v9, 0xffff0000, v3
	v_lshlrev_b32_e32 v8, 16, v3
	v_and_b32_e32 v3, 0xffff0000, v2
	v_lshlrev_b32_e32 v2, 16, v2
	;; [unrolled: 2-line block ×4, first 2 shown]
	v_pk_mul_f32 v[12:13], v[8:9], s[20:21] op_sel_hi:[1,0]
	v_pk_mul_f32 v[16:17], v[2:3], s[20:21] op_sel_hi:[1,0]
	;; [unrolled: 1-line block ×4, first 2 shown]
	v_mul_f32_e32 v24, 0x3fb8aa3b, v13
	v_mul_f32_e32 v25, 0x3fb8aa3b, v12
	;; [unrolled: 1-line block ×7, first 2 shown]
	v_fma_f32 v32, v13, s17, -v24
	v_rndne_f32_e32 v33, v24
	v_fma_f32 v34, v12, s17, -v25
	v_rndne_f32_e32 v35, v25
	v_mul_f32_e32 v31, 0x3fb8aa3b, v14
	v_fma_f32 v36, v17, s17, -v26
	v_rndne_f32_e32 v37, v26
	v_fma_f32 v38, v16, s17, -v27
	v_rndne_f32_e32 v39, v27
	;; [unrolled: 2-line block ×5, first 2 shown]
	v_fmac_f32_e32 v32, 0x32a5705f, v13
	v_sub_f32_e32 v24, v24, v33
	v_fmac_f32_e32 v34, 0x32a5705f, v12
	v_sub_f32_e32 v25, v25, v35
	v_fma_f32 v46, v14, s17, -v31
	v_rndne_f32_e32 v47, v31
	v_fmac_f32_e32 v36, 0x32a5705f, v17
	v_sub_f32_e32 v26, v26, v37
	v_fmac_f32_e32 v38, 0x32a5705f, v16
	v_sub_f32_e32 v27, v27, v39
	;; [unrolled: 2-line block ×5, first 2 shown]
	v_add_f32_e32 v24, v24, v32
	v_add_f32_e32 v25, v25, v34
	v_cvt_i32_f32_e32 v33, v33
	v_cvt_i32_f32_e32 v35, v35
	v_fmac_f32_e32 v46, 0x32a5705f, v14
	v_sub_f32_e32 v31, v31, v47
	v_add_f32_e32 v26, v26, v36
	v_add_f32_e32 v27, v27, v38
	;; [unrolled: 1-line block ×5, first 2 shown]
	v_exp_f32_e32 v24, v24
	v_exp_f32_e32 v25, v25
	v_cvt_i32_f32_e32 v37, v37
	v_cvt_i32_f32_e32 v39, v39
	;; [unrolled: 1-line block ×5, first 2 shown]
	v_add_f32_e32 v31, v31, v46
	v_exp_f32_e32 v26, v26
	v_exp_f32_e32 v27, v27
	;; [unrolled: 1-line block ×5, first 2 shown]
	v_cvt_i32_f32_e32 v47, v47
	v_exp_f32_e32 v31, v31
	v_ldexp_f32 v24, v24, v33
	v_ldexp_f32 v25, v25, v35
	v_cmp_ngt_f32_e32 vcc, s25, v12
	v_cmp_ngt_f32_e64 s[12:13], s25, v13
	v_ldexp_f32 v26, v26, v37
	v_cmp_ngt_f32_e64 s[0:1], s25, v17
	v_ldexp_f32 v27, v27, v39
	;; [unrolled: 2-line block ×5, first 2 shown]
	v_cmp_ngt_f32_e64 s[8:9], s25, v15
	v_cndmask_b32_e64 v24, 0, v24, s[12:13]
	v_cndmask_b32_e32 v25, 0, v25, vcc
	v_cmp_nlt_f32_e32 vcc, s26, v12
	v_cmp_nlt_f32_e64 s[12:13], s26, v13
	v_ldexp_f32 v31, v31, v47
	v_cmp_ngt_f32_e64 s[10:11], s25, v14
	v_cndmask_b32_e64 v26, 0, v26, s[0:1]
	v_cmp_nlt_f32_e64 s[0:1], s26, v17
	v_cndmask_b32_e64 v17, 0, v27, s[2:3]
	v_cmp_nlt_f32_e64 s[2:3], s26, v16
	;; [unrolled: 2-line block ×5, first 2 shown]
	v_cndmask_b32_e64 v13, v21, v24, s[12:13]
	v_cndmask_b32_e32 v12, v21, v25, vcc
	v_cndmask_b32_e64 v28, 0, v31, s[10:11]
	v_cmp_nlt_f32_e64 s[10:11], s26, v14
	v_cndmask_b32_e64 v15, v21, v26, s[0:1]
	v_cndmask_b32_e64 v14, v21, v17, s[2:3]
	;; [unrolled: 1-line block ×5, first 2 shown]
	v_pk_add_f32 v[18:19], v[12:13], 1.0 op_sel_hi:[1,0]
	v_cndmask_b32_e64 v26, v21, v28, s[10:11]
	v_pk_add_f32 v[16:17], v[14:15], 1.0 op_sel_hi:[1,0]
	v_pk_add_f32 v[14:15], v[24:25], 1.0 op_sel_hi:[1,0]
	v_div_scale_f32 v24, s[0:1], v19, v19, v9
	v_pk_add_f32 v[12:13], v[26:27], 1.0 op_sel_hi:[1,0]
	v_div_scale_f32 v26, s[0:1], v18, v18, v8
	v_rcp_f32_e32 v40, v24
	v_div_scale_f32 v28, s[0:1], v17, v17, v3
	v_rcp_f32_e32 v41, v26
	;; [unrolled: 2-line block ×5, first 2 shown]
	v_fma_f32 v48, -v24, v40, 1.0
	v_div_scale_f32 v25, vcc, v9, v19, v9
	v_div_scale_f32 v36, s[10:11], v13, v13, v5
	v_rcp_f32_e32 v45, v34
	v_fma_f32 v49, -v26, v41, 1.0
	v_fmac_f32_e32 v40, v48, v40
	v_div_scale_f32 v27, s[6:7], v8, v18, v8
	v_div_scale_f32 v38, s[12:13], v12, v12, v4
	v_rcp_f32_e32 v46, v36
	v_fma_f32 v50, -v28, v42, 1.0
	v_fmac_f32_e32 v41, v49, v41
	v_mul_f32_e32 v48, v25, v40
	v_div_scale_f32 v29, s[4:5], v3, v17, v3
	v_rcp_f32_e32 v47, v38
	v_fma_f32 v51, -v30, v43, 1.0
	v_fmac_f32_e32 v42, v50, v42
	v_mul_f32_e32 v49, v27, v41
	v_fma_f32 v56, -v24, v48, v25
	v_div_scale_f32 v31, s[2:3], v2, v16, v2
	v_fma_f32 v52, -v32, v44, 1.0
	v_fmac_f32_e32 v43, v51, v43
	v_mul_f32_e32 v50, v29, v42
	v_fmac_f32_e32 v48, v56, v40
	v_fma_f32 v56, -v26, v49, v27
	v_div_scale_f32 v33, s[0:1], v11, v15, v11
	v_fma_f32 v53, -v34, v45, 1.0
	v_fmac_f32_e32 v44, v52, v44
	v_mul_f32_e32 v51, v31, v43
	v_fmac_f32_e32 v49, v56, v41
	;; [unrolled: 6-line block ×4, first 2 shown]
	v_fma_f32 v56, -v32, v52, v33
	v_div_scale_f32 v39, s[12:13], v4, v12, v4
	v_fmac_f32_e32 v47, v55, v47
	v_mul_f32_e32 v54, v37, v46
	v_fmac_f32_e32 v52, v56, v44
	v_fma_f32 v56, -v34, v53, v35
	v_mul_f32_e32 v55, v39, v47
	v_fmac_f32_e32 v53, v56, v45
	v_fma_f32 v56, -v36, v54, v37
	v_fmac_f32_e32 v54, v56, v46
	v_fma_f32 v56, -v38, v55, v39
	;; [unrolled: 2-line block ×3, first 2 shown]
	v_fma_f32 v26, -v26, v49, v27
	v_fma_f32 v27, -v28, v50, v29
	;; [unrolled: 1-line block ×3, first 2 shown]
	v_div_fmas_f32 v33, v56, v40, v48
	s_mov_b64 vcc, s[6:7]
	v_div_fixup_f32 v9, v33, v19, v9
	v_div_fmas_f32 v19, v26, v41, v49
	s_mov_b64 vcc, s[4:5]
	v_fma_f32 v28, -v30, v51, v31
	v_div_fixup_f32 v8, v19, v18, v8
	v_div_fmas_f32 v18, v27, v42, v50
	v_bfe_u32 v19, v9, 16, 1
	s_mov_b64 vcc, s[2:3]
	v_div_fixup_f32 v3, v18, v17, v3
	v_div_fmas_f32 v17, v28, v43, v51
	v_bfe_u32 v18, v8, 16, 1
	v_add3_u32 v19, v9, v19, s27
	s_mov_b64 vcc, s[0:1]
	v_div_fixup_f32 v2, v17, v16, v2
	v_add3_u32 v17, v8, v18, s27
	v_lshrrev_b32_e32 v18, 16, v19
	v_div_fmas_f32 v19, v29, v44, v52
	v_cmp_o_f32_e32 vcc, v9, v9
	v_fma_f32 v30, -v34, v53, v35
	v_bfe_u32 v16, v3, 16, 1
	v_cndmask_b32_e32 v18, v22, v18, vcc
	s_mov_b64 vcc, s[8:9]
	v_bfe_u32 v9, v2, 16, 1
	v_add3_u32 v16, v3, v16, s27
	v_lshrrev_b32_e32 v17, 16, v17
	v_div_fixup_f32 v11, v19, v15, v11
	v_div_fmas_f32 v15, v30, v45, v53
	v_cmp_o_f32_e32 vcc, v8, v8
	v_fma_f32 v31, -v36, v54, v37
	v_add3_u32 v8, v2, v9, s27
	v_lshrrev_b32_e32 v9, 16, v16
	v_cndmask_b32_e32 v16, v22, v17, vcc
	s_mov_b64 vcc, s[10:11]
	v_div_fixup_f32 v10, v15, v14, v10
	v_div_fmas_f32 v14, v31, v46, v54
	v_cmp_o_f32_e32 vcc, v3, v3
	v_fma_f32 v32, -v38, v55, v39
	v_bfe_u32 v15, v11, 16, 1
	v_cndmask_b32_e32 v9, v22, v9, vcc
	s_mov_b64 vcc, s[12:13]
	v_lshrrev_b32_e32 v8, 16, v8
	v_div_fixup_f32 v5, v14, v13, v5
	v_div_fmas_f32 v13, v32, v47, v55
	v_bfe_u32 v14, v10, 16, 1
	v_add3_u32 v15, v11, v15, s27
	v_cmp_o_f32_e32 vcc, v2, v2
	v_add_co_u32_e64 v24, s[14:15], s16, v6
	v_cndmask_b32_e32 v2, v22, v8, vcc
	v_div_fixup_f32 v4, v13, v12, v4
	v_bfe_u32 v8, v5, 16, 1
	v_add3_u32 v12, v10, v14, s27
	v_lshrrev_b32_e32 v13, 16, v15
	v_cmp_o_f32_e32 vcc, v11, v11
	v_addc_co_u32_e64 v25, s[14:15], v20, v1, s[14:15]
	v_bfe_u32 v11, v4, 16, 1
	v_add3_u32 v8, v5, v8, s27
	v_lshrrev_b32_e32 v12, 16, v12
	v_cndmask_b32_e32 v13, v22, v13, vcc
	v_cmp_o_f32_e32 vcc, v10, v10
	v_add_co_u32_e64 v6, s[14:15], s23, v6
	v_perm_b32 v2, v9, v2, s28
	v_add3_u32 v9, v4, v11, s27
	v_lshrrev_b32_e32 v8, 16, v8
	v_cndmask_b32_e32 v10, v22, v12, vcc
	v_cmp_o_f32_e32 vcc, v5, v5
	v_addc_co_u32_e64 v1, s[14:15], v1, v23, s[14:15]
	v_lshrrev_b32_e32 v9, 16, v9
	v_cndmask_b32_e32 v8, v22, v8, vcc
	v_cmp_o_f32_e32 vcc, v4, v4
	v_cmp_le_i32_e64 s[14:15], s21, v0
	v_cndmask_b32_e32 v4, v22, v9, vcc
	s_or_b64 s[18:19], s[14:15], s[18:19]
	v_perm_b32 v3, v18, v16, s28
	v_perm_b32 v5, v13, v10, s28
	v_perm_b32 v4, v8, v4, s28
	global_store_dwordx4 v[24:25], v[2:5], off
	s_andn2_b64 exec, exec, s[18:19]
	s_cbranch_execnz .LBB82_7
.LBB82_8:
	s_endpgm
	.section	.rodata,"a",@progbits
	.p2align	6, 0x0
	.amdhsa_kernel _ZN4vllm17activation_kernelIN3c108BFloat16ETnPFT_RKS3_EXadL_ZNS_17gelu_quick_kernelIS2_EES3_S5_EELb1ELb0EEEvPS3_PS4_i
		.amdhsa_group_segment_fixed_size 0
		.amdhsa_private_segment_fixed_size 0
		.amdhsa_kernarg_size 280
		.amdhsa_user_sgpr_count 6
		.amdhsa_user_sgpr_private_segment_buffer 1
		.amdhsa_user_sgpr_dispatch_ptr 0
		.amdhsa_user_sgpr_queue_ptr 0
		.amdhsa_user_sgpr_kernarg_segment_ptr 1
		.amdhsa_user_sgpr_dispatch_id 0
		.amdhsa_user_sgpr_flat_scratch_init 0
		.amdhsa_user_sgpr_kernarg_preload_length 0
		.amdhsa_user_sgpr_kernarg_preload_offset 0
		.amdhsa_user_sgpr_private_segment_size 0
		.amdhsa_uses_dynamic_stack 0
		.amdhsa_system_sgpr_private_segment_wavefront_offset 0
		.amdhsa_system_sgpr_workgroup_id_x 1
		.amdhsa_system_sgpr_workgroup_id_y 0
		.amdhsa_system_sgpr_workgroup_id_z 0
		.amdhsa_system_sgpr_workgroup_info 0
		.amdhsa_system_vgpr_workitem_id 0
		.amdhsa_next_free_vgpr 57
		.amdhsa_next_free_sgpr 29
		.amdhsa_accum_offset 60
		.amdhsa_reserve_vcc 1
		.amdhsa_reserve_flat_scratch 0
		.amdhsa_float_round_mode_32 0
		.amdhsa_float_round_mode_16_64 0
		.amdhsa_float_denorm_mode_32 3
		.amdhsa_float_denorm_mode_16_64 3
		.amdhsa_dx10_clamp 1
		.amdhsa_ieee_mode 1
		.amdhsa_fp16_overflow 0
		.amdhsa_tg_split 0
		.amdhsa_exception_fp_ieee_invalid_op 0
		.amdhsa_exception_fp_denorm_src 0
		.amdhsa_exception_fp_ieee_div_zero 0
		.amdhsa_exception_fp_ieee_overflow 0
		.amdhsa_exception_fp_ieee_underflow 0
		.amdhsa_exception_fp_ieee_inexact 0
		.amdhsa_exception_int_div_zero 0
	.end_amdhsa_kernel
	.section	.text._ZN4vllm17activation_kernelIN3c108BFloat16ETnPFT_RKS3_EXadL_ZNS_17gelu_quick_kernelIS2_EES3_S5_EELb1ELb0EEEvPS3_PS4_i,"axG",@progbits,_ZN4vllm17activation_kernelIN3c108BFloat16ETnPFT_RKS3_EXadL_ZNS_17gelu_quick_kernelIS2_EES3_S5_EELb1ELb0EEEvPS3_PS4_i,comdat
.Lfunc_end82:
	.size	_ZN4vllm17activation_kernelIN3c108BFloat16ETnPFT_RKS3_EXadL_ZNS_17gelu_quick_kernelIS2_EES3_S5_EELb1ELb0EEEvPS3_PS4_i, .Lfunc_end82-_ZN4vllm17activation_kernelIN3c108BFloat16ETnPFT_RKS3_EXadL_ZNS_17gelu_quick_kernelIS2_EES3_S5_EELb1ELb0EEEvPS3_PS4_i
                                        ; -- End function
	.section	.AMDGPU.csdata,"",@progbits
; Kernel info:
; codeLenInByte = 5332
; NumSgprs: 33
; NumVgprs: 57
; NumAgprs: 0
; TotalNumVgprs: 57
; ScratchSize: 0
; MemoryBound: 0
; FloatMode: 240
; IeeeMode: 1
; LDSByteSize: 0 bytes/workgroup (compile time only)
; SGPRBlocks: 4
; VGPRBlocks: 7
; NumSGPRsForWavesPerEU: 33
; NumVGPRsForWavesPerEU: 57
; AccumOffset: 60
; Occupancy: 8
; WaveLimiterHint : 0
; COMPUTE_PGM_RSRC2:SCRATCH_EN: 0
; COMPUTE_PGM_RSRC2:USER_SGPR: 6
; COMPUTE_PGM_RSRC2:TRAP_HANDLER: 0
; COMPUTE_PGM_RSRC2:TGID_X_EN: 1
; COMPUTE_PGM_RSRC2:TGID_Y_EN: 0
; COMPUTE_PGM_RSRC2:TGID_Z_EN: 0
; COMPUTE_PGM_RSRC2:TIDIG_COMP_CNT: 0
; COMPUTE_PGM_RSRC3_GFX90A:ACCUM_OFFSET: 14
; COMPUTE_PGM_RSRC3_GFX90A:TG_SPLIT: 0
	.section	.text._ZN4vllm17activation_kernelIfTnPFT_RKS1_EXadL_ZNS_17gelu_quick_kernelIfEES1_S3_EELb0ELb0EEEvPS1_PS2_i,"axG",@progbits,_ZN4vllm17activation_kernelIfTnPFT_RKS1_EXadL_ZNS_17gelu_quick_kernelIfEES1_S3_EELb0ELb0EEEvPS1_PS2_i,comdat
	.protected	_ZN4vllm17activation_kernelIfTnPFT_RKS1_EXadL_ZNS_17gelu_quick_kernelIfEES1_S3_EELb0ELb0EEEvPS1_PS2_i ; -- Begin function _ZN4vllm17activation_kernelIfTnPFT_RKS1_EXadL_ZNS_17gelu_quick_kernelIfEES1_S3_EELb0ELb0EEEvPS1_PS2_i
	.globl	_ZN4vllm17activation_kernelIfTnPFT_RKS1_EXadL_ZNS_17gelu_quick_kernelIfEES1_S3_EELb0ELb0EEEvPS1_PS2_i
	.p2align	8
	.type	_ZN4vllm17activation_kernelIfTnPFT_RKS1_EXadL_ZNS_17gelu_quick_kernelIfEES1_S3_EELb0ELb0EEEvPS1_PS2_i,@function
_ZN4vllm17activation_kernelIfTnPFT_RKS1_EXadL_ZNS_17gelu_quick_kernelIfEES1_S3_EELb0ELb0EEEvPS1_PS2_i: ; @_ZN4vllm17activation_kernelIfTnPFT_RKS1_EXadL_ZNS_17gelu_quick_kernelIfEES1_S3_EELb0ELb0EEEvPS1_PS2_i
; %bb.0:
	s_load_dword s2, s[4:5], 0x10
	s_waitcnt lgkmcnt(0)
	v_cmp_gt_i32_e32 vcc, s2, v0
	s_and_saveexec_b64 s[0:1], vcc
	s_cbranch_execz .LBB83_14
; %bb.1:
	s_load_dword s0, s[4:5], 0x24
	s_ashr_i32 s3, s2, 31
	v_mov_b32_e32 v2, s3
	v_mov_b32_e32 v1, 0
	s_mov_b32 s18, 0
	s_waitcnt lgkmcnt(0)
	s_and_b32 s17, s0, 0xffff
	v_add_co_u32_e32 v4, vcc, s17, v0
	v_addc_co_u32_e64 v5, s[0:1], 0, 0, vcc
	v_cmp_lt_i64_e32 vcc, s[2:3], v[4:5]
	v_cndmask_b32_e32 v6, v2, v5, vcc
	v_mov_b32_e32 v2, s2
	v_cndmask_b32_e32 v3, v2, v4, vcc
	v_cmp_gt_i64_e32 vcc, s[2:3], v[4:5]
	v_cndmask_b32_e64 v2, 0, 1, vcc
	v_add_co_u32_e32 v4, vcc, v4, v2
	v_addc_co_u32_e32 v5, vcc, 0, v5, vcc
	v_sub_co_u32_e32 v3, vcc, v3, v4
	v_subb_co_u32_e32 v5, vcc, v6, v5, vcc
	v_mov_b32_e32 v4, v1
	v_cmp_ne_u64_e32 vcc, 0, v[4:5]
                                        ; implicit-def: $vgpr6_vgpr7
	s_and_saveexec_b64 s[0:1], vcc
	s_xor_b64 s[8:9], exec, s[0:1]
	s_cbranch_execz .LBB83_3
; %bb.2:
	v_cvt_f32_u32_e32 v4, s17
	v_mov_b32_e32 v6, 0x4f800000
	s_sub_u32 s0, 0, s17
	s_subb_u32 s1, 0, 0
	v_mac_f32_e32 v4, 0, v6
	v_rcp_f32_e32 v4, v4
	v_mul_f32_e32 v4, 0x5f7ffffc, v4
	v_mul_f32_e32 v6, 0x2f800000, v4
	v_trunc_f32_e32 v6, v6
	v_madmk_f32 v4, v6, 0xcf800000, v4
	v_cvt_u32_f32_e32 v6, v6
	v_cvt_u32_f32_e32 v4, v4
	v_mul_lo_u32 v7, s0, v6
	v_mul_hi_u32 v9, s0, v4
	v_mul_lo_u32 v8, s1, v4
	v_add_u32_e32 v7, v9, v7
	v_mul_lo_u32 v10, s0, v4
	v_add_u32_e32 v7, v7, v8
	v_mul_hi_u32 v9, v4, v10
	v_mul_lo_u32 v11, v4, v7
	v_mul_hi_u32 v8, v4, v7
	v_add_co_u32_e32 v9, vcc, v9, v11
	v_addc_co_u32_e32 v8, vcc, 0, v8, vcc
	v_mul_hi_u32 v12, v6, v10
	v_mul_lo_u32 v10, v6, v10
	v_add_co_u32_e32 v9, vcc, v9, v10
	v_mul_hi_u32 v11, v6, v7
	v_addc_co_u32_e32 v8, vcc, v8, v12, vcc
	v_addc_co_u32_e32 v9, vcc, 0, v11, vcc
	v_mul_lo_u32 v7, v6, v7
	v_add_co_u32_e32 v7, vcc, v8, v7
	v_addc_co_u32_e32 v8, vcc, 0, v9, vcc
	v_add_co_u32_e32 v4, vcc, v4, v7
	v_addc_co_u32_e32 v6, vcc, v6, v8, vcc
	v_mul_lo_u32 v7, s0, v6
	v_mul_hi_u32 v8, s0, v4
	v_add_u32_e32 v7, v8, v7
	v_mul_lo_u32 v8, s1, v4
	v_add_u32_e32 v7, v7, v8
	v_mul_lo_u32 v9, s0, v4
	v_mul_hi_u32 v10, v6, v9
	v_mul_lo_u32 v11, v6, v9
	v_mul_lo_u32 v13, v4, v7
	v_mul_hi_u32 v9, v4, v9
	v_mul_hi_u32 v12, v4, v7
	v_add_co_u32_e32 v9, vcc, v9, v13
	v_addc_co_u32_e32 v12, vcc, 0, v12, vcc
	v_add_co_u32_e32 v9, vcc, v9, v11
	v_mul_hi_u32 v8, v6, v7
	v_addc_co_u32_e32 v9, vcc, v12, v10, vcc
	v_addc_co_u32_e32 v8, vcc, 0, v8, vcc
	v_mul_lo_u32 v7, v6, v7
	v_add_co_u32_e32 v7, vcc, v9, v7
	v_addc_co_u32_e32 v8, vcc, 0, v8, vcc
	v_add_co_u32_e32 v4, vcc, v4, v7
	v_addc_co_u32_e32 v8, vcc, v6, v8, vcc
	v_mad_u64_u32 v[6:7], s[0:1], v3, v8, 0
	v_mul_hi_u32 v9, v3, v4
	v_add_co_u32_e32 v10, vcc, v9, v6
	v_addc_co_u32_e32 v11, vcc, 0, v7, vcc
	v_mad_u64_u32 v[6:7], s[0:1], v5, v8, 0
	v_mad_u64_u32 v[8:9], s[0:1], v5, v4, 0
	v_add_co_u32_e32 v4, vcc, v10, v8
	v_addc_co_u32_e32 v4, vcc, v11, v9, vcc
	v_addc_co_u32_e32 v7, vcc, 0, v7, vcc
	v_add_co_u32_e32 v10, vcc, v4, v6
	v_addc_co_u32_e32 v11, vcc, 0, v7, vcc
	v_mad_u64_u32 v[6:7], s[0:1], s17, v10, 0
	v_mov_b32_e32 v4, v7
	v_mad_u64_u32 v[8:9], s[0:1], s17, v11, v[4:5]
	v_sub_co_u32_e32 v3, vcc, v3, v6
	v_subb_co_u32_e32 v4, vcc, v5, v8, vcc
	v_subrev_co_u32_e32 v5, vcc, s17, v3
	v_subbrev_co_u32_e32 v6, vcc, 0, v4, vcc
	v_cmp_le_u32_e32 vcc, s17, v5
	v_cndmask_b32_e64 v5, 0, -1, vcc
	v_cmp_eq_u32_e32 vcc, 0, v6
	v_cndmask_b32_e32 v5, -1, v5, vcc
	v_add_co_u32_e32 v6, vcc, 2, v10
	v_addc_co_u32_e32 v7, vcc, 0, v11, vcc
	v_add_co_u32_e32 v8, vcc, 1, v10
	v_cmp_le_u32_e64 s[0:1], s17, v3
	v_addc_co_u32_e32 v9, vcc, 0, v11, vcc
	v_cndmask_b32_e64 v3, 0, -1, s[0:1]
	v_cmp_eq_u32_e64 s[0:1], 0, v4
	v_cmp_ne_u32_e32 vcc, 0, v5
	v_cndmask_b32_e64 v3, -1, v3, s[0:1]
	v_cndmask_b32_e32 v5, v9, v7, vcc
	v_cmp_ne_u32_e64 s[0:1], 0, v3
	v_cndmask_b32_e32 v3, v8, v6, vcc
	v_cndmask_b32_e64 v7, v11, v5, s[0:1]
	v_cndmask_b32_e64 v6, v10, v3, s[0:1]
                                        ; implicit-def: $vgpr3
.LBB83_3:
	s_andn2_saveexec_b64 s[0:1], s[8:9]
	s_cbranch_execz .LBB83_5
; %bb.4:
	v_cvt_f32_u32_e32 v4, s17
	s_sub_i32 s7, 0, s17
	v_mov_b32_e32 v7, 0
	v_rcp_iflag_f32_e32 v4, v4
	v_mul_f32_e32 v4, 0x4f7ffffe, v4
	v_cvt_u32_f32_e32 v4, v4
	v_mul_lo_u32 v5, s7, v4
	v_mul_hi_u32 v5, v4, v5
	v_add_u32_e32 v4, v4, v5
	v_mul_hi_u32 v4, v3, v4
	v_mul_lo_u32 v5, v4, s17
	v_sub_u32_e32 v3, v3, v5
	v_add_u32_e32 v6, 1, v4
	v_subrev_u32_e32 v5, s17, v3
	v_cmp_le_u32_e32 vcc, s17, v3
	v_cndmask_b32_e32 v3, v3, v5, vcc
	v_cndmask_b32_e32 v4, v4, v6, vcc
	v_add_u32_e32 v5, 1, v4
	v_cmp_le_u32_e32 vcc, s17, v3
	v_cndmask_b32_e32 v6, v4, v5, vcc
.LBB83_5:
	s_or_b64 exec, exec, s[0:1]
	v_add_co_u32_e32 v2, vcc, v6, v2
	s_load_dwordx4 s[8:11], s[4:5], 0x0
	v_addc_co_u32_e32 v3, vcc, 0, v7, vcc
	v_add_co_u32_e32 v2, vcc, 1, v2
	v_addc_co_u32_e32 v3, vcc, 0, v3, vcc
	s_mul_i32 s0, s6, s2
	s_mov_b32 s1, 0
	v_cmp_gt_u64_e32 vcc, 2, v[2:3]
	v_cmp_ne_u16_e64 s[4:5], s17, 1
                                        ; kill: def $vgpr4_vgpr5 killed $sgpr0_sgpr1 killed $exec
	s_or_b64 s[6:7], vcc, s[4:5]
	s_mov_b64 s[4:5], 0
	v_mov_b32_e32 v5, v3
                                        ; implicit-def: $sgpr12_sgpr13
	s_and_saveexec_b64 s[14:15], s[6:7]
	s_xor_b64 s[6:7], exec, s[14:15]
	s_cbranch_execnz .LBB83_8
; %bb.6:
	s_or_saveexec_b64 s[6:7], s[6:7]
	v_pk_mov_b32 v[6:7], s[12:13], s[12:13] op_sel:[0,1]
	s_xor_b64 exec, exec, s[6:7]
	s_cbranch_execnz .LBB83_9
.LBB83_7:
	s_or_b64 exec, exec, s[6:7]
	s_and_b64 exec, exec, s[4:5]
	s_cbranch_execnz .LBB83_12
	s_branch .LBB83_14
.LBB83_8:
	s_mov_b64 s[4:5], exec
	s_lshl_b64 s[12:13], s[0:1], 2
                                        ; implicit-def: $vgpr2_vgpr3
                                        ; implicit-def: $vgpr5
	s_or_saveexec_b64 s[6:7], s[6:7]
	v_pk_mov_b32 v[6:7], s[12:13], s[12:13] op_sel:[0,1]
	s_xor_b64 exec, exec, s[6:7]
	s_cbranch_execz .LBB83_7
.LBB83_9:
	v_lshlrev_b32_e32 v6, 2, v0
	s_lshl_b64 s[12:13], s[0:1], 2
	v_and_b32_e32 v4, -2, v2
	s_mov_b32 s23, 0
	v_mov_b32_e32 v7, s13
	v_add_co_u32_e32 v6, vcc, s12, v6
	v_addc_co_u32_e32 v7, vcc, 0, v7, vcc
	s_lshl_b32 s19, s17, 3
	s_mov_b64 s[14:15], 0
	s_waitcnt lgkmcnt(0)
	v_mov_b32_e32 v12, s11
	s_mov_b32 s16, 0xbfd9db23
	s_mov_b32 s20, 0x3fb8aa3b
	;; [unrolled: 1-line block ×4, first 2 shown]
	v_mov_b32_e32 v13, 0x7f800000
	v_mov_b32_e32 v14, s9
	;; [unrolled: 1-line block ×3, first 2 shown]
	v_pk_mov_b32 v[8:9], v[4:5], v[4:5] op_sel:[0,1]
.LBB83_10:                              ; =>This Inner Loop Header: Depth=1
	v_add_co_u32_e32 v10, vcc, s10, v6
	v_addc_co_u32_e32 v11, vcc, v12, v7, vcc
	global_load_dwordx2 v[10:11], v[10:11], off
	v_add_co_u32_e32 v16, vcc, s8, v6
	v_addc_co_u32_e32 v17, vcc, v14, v7, vcc
	v_add_co_u32_e32 v8, vcc, -2, v8
	v_addc_co_u32_e32 v9, vcc, -1, v9, vcc
	v_add_co_u32_e32 v6, vcc, s19, v6
	v_addc_co_u32_e32 v7, vcc, v7, v15, vcc
	v_cmp_eq_u64_e32 vcc, 0, v[8:9]
	s_or_b64 s[14:15], vcc, s[14:15]
	s_waitcnt vmcnt(0)
	v_pk_mul_f32 v[18:19], v[10:11], s[16:17] op_sel_hi:[1,0]
	v_mul_f32_e32 v20, 0x3fb8aa3b, v19
	v_mul_f32_e32 v21, 0x3fb8aa3b, v18
	v_fma_f32 v22, v19, s20, -v20
	v_rndne_f32_e32 v23, v20
	v_fma_f32 v24, v18, s20, -v21
	v_rndne_f32_e32 v25, v21
	v_fmac_f32_e32 v22, 0x32a5705f, v19
	v_sub_f32_e32 v20, v20, v23
	v_fmac_f32_e32 v24, 0x32a5705f, v18
	v_sub_f32_e32 v21, v21, v25
	v_add_f32_e32 v20, v20, v22
	v_add_f32_e32 v21, v21, v24
	v_cvt_i32_f32_e32 v23, v23
	v_cvt_i32_f32_e32 v25, v25
	v_exp_f32_e32 v20, v20
	v_exp_f32_e32 v21, v21
	v_cmp_ngt_f32_e32 vcc, s21, v18
	v_cmp_ngt_f32_e64 s[0:1], s21, v19
	v_ldexp_f32 v20, v20, v23
	v_ldexp_f32 v21, v21, v25
	v_cndmask_b32_e64 v20, 0, v20, s[0:1]
	v_cndmask_b32_e32 v21, 0, v21, vcc
	v_cmp_nlt_f32_e32 vcc, s22, v18
	v_cmp_nlt_f32_e64 s[0:1], s22, v19
	v_cndmask_b32_e64 v19, v13, v20, s[0:1]
	v_cndmask_b32_e32 v18, v13, v21, vcc
	v_pk_add_f32 v[18:19], v[18:19], 1.0 op_sel_hi:[1,0]
	v_div_scale_f32 v20, s[0:1], v19, v19, v11
	v_div_scale_f32 v22, s[0:1], v18, v18, v10
	v_rcp_f32_e32 v24, v20
	v_rcp_f32_e32 v25, v22
	v_div_scale_f32 v21, vcc, v11, v19, v11
	v_fma_f32 v26, -v20, v24, 1.0
	v_fma_f32 v27, -v22, v25, 1.0
	v_fmac_f32_e32 v24, v26, v24
	v_div_scale_f32 v23, s[0:1], v10, v18, v10
	v_fmac_f32_e32 v25, v27, v25
	v_mul_f32_e32 v26, v21, v24
	v_mul_f32_e32 v27, v23, v25
	v_fma_f32 v28, -v20, v26, v21
	v_fma_f32 v29, -v22, v27, v23
	v_fmac_f32_e32 v26, v28, v24
	v_fmac_f32_e32 v27, v29, v25
	v_fma_f32 v20, -v20, v26, v21
	v_fma_f32 v21, -v22, v27, v23
	v_div_fmas_f32 v20, v20, v24, v26
	s_mov_b64 vcc, s[0:1]
	v_div_fixup_f32 v11, v20, v19, v11
	v_div_fmas_f32 v19, v21, v25, v27
	v_div_fixup_f32 v10, v19, v18, v10
	global_store_dwordx2 v[16:17], v[10:11], off
	s_andn2_b64 exec, exec, s[14:15]
	s_cbranch_execnz .LBB83_10
; %bb.11:
	s_or_b64 exec, exec, s[14:15]
	v_mad_u64_u32 v[0:1], s[0:1], v4, s17, v[0:1]
	v_mov_b32_e32 v6, v1
	v_mad_u64_u32 v[6:7], s[0:1], v5, s17, v[6:7]
	v_cmp_ne_u64_e32 vcc, v[2:3], v[4:5]
	s_andn2_b64 s[0:1], s[4:5], exec
	s_and_b64 s[4:5], vcc, exec
	v_mov_b32_e32 v1, v6
	v_pk_mov_b32 v[6:7], s[12:13], s[12:13] op_sel:[0,1]
	s_or_b64 s[4:5], s[0:1], s[4:5]
	s_or_b64 exec, exec, s[6:7]
	s_and_b64 exec, exec, s[4:5]
	s_cbranch_execz .LBB83_14
.LBB83_12:
	v_lshlrev_b64 v[2:3], 2, v[0:1]
	v_add_co_u32_e32 v2, vcc, v2, v6
	s_mov_b32 s12, 0
	v_addc_co_u32_e32 v3, vcc, v3, v7, vcc
	s_lshl_b32 s4, s17, 2
	s_mov_b64 s[0:1], 0
	s_waitcnt lgkmcnt(0)
	v_mov_b32_e32 v4, s11
	s_mov_b32 s5, 0x3fb8aa3b
	s_mov_b32 s6, 0xc2ce8ed0
	;; [unrolled: 1-line block ×3, first 2 shown]
	v_mov_b32_e32 v5, 0x7f800000
	v_mov_b32_e32 v6, s9
	;; [unrolled: 1-line block ×4, first 2 shown]
.LBB83_13:                              ; =>This Inner Loop Header: Depth=1
	v_add_co_u32_e32 v10, vcc, s10, v2
	v_addc_co_u32_e32 v11, vcc, v4, v3, vcc
	global_load_dword v9, v[10:11], off
	v_add_co_u32_e32 v10, vcc, s8, v2
	v_addc_co_u32_e32 v11, vcc, v6, v3, vcc
	v_add_co_u32_e32 v0, vcc, s17, v0
	v_addc_co_u32_e32 v1, vcc, v1, v7, vcc
	v_add_co_u32_e32 v2, vcc, s4, v2
	v_addc_co_u32_e32 v3, vcc, v3, v8, vcc
	v_cmp_le_i64_e32 vcc, s[2:3], v[0:1]
	s_or_b64 s[0:1], vcc, s[0:1]
	s_waitcnt vmcnt(0)
	v_mul_f32_e32 v12, 0xbfd9db23, v9
	v_mul_f32_e32 v13, 0x3fb8aa3b, v12
	v_fma_f32 v14, v12, s5, -v13
	v_rndne_f32_e32 v15, v13
	v_fmac_f32_e32 v14, 0x32a5705f, v12
	v_sub_f32_e32 v13, v13, v15
	v_add_f32_e32 v13, v13, v14
	v_cvt_i32_f32_e32 v15, v15
	v_exp_f32_e32 v13, v13
	v_cmp_ngt_f32_e32 vcc, s6, v12
	v_ldexp_f32 v13, v13, v15
	v_cndmask_b32_e32 v13, 0, v13, vcc
	v_cmp_nlt_f32_e32 vcc, s7, v12
	v_cndmask_b32_e32 v12, v5, v13, vcc
	v_add_f32_e32 v12, 1.0, v12
	v_div_scale_f32 v13, s[12:13], v12, v12, v9
	v_rcp_f32_e32 v14, v13
	v_div_scale_f32 v15, vcc, v9, v12, v9
	v_fma_f32 v16, -v13, v14, 1.0
	v_fmac_f32_e32 v14, v16, v14
	v_mul_f32_e32 v16, v15, v14
	v_fma_f32 v17, -v13, v16, v15
	v_fmac_f32_e32 v16, v17, v14
	v_fma_f32 v13, -v13, v16, v15
	v_div_fmas_f32 v13, v13, v14, v16
	v_div_fixup_f32 v9, v13, v12, v9
	global_store_dword v[10:11], v9, off
	s_andn2_b64 exec, exec, s[0:1]
	s_cbranch_execnz .LBB83_13
.LBB83_14:
	s_endpgm
	.section	.rodata,"a",@progbits
	.p2align	6, 0x0
	.amdhsa_kernel _ZN4vllm17activation_kernelIfTnPFT_RKS1_EXadL_ZNS_17gelu_quick_kernelIfEES1_S3_EELb0ELb0EEEvPS1_PS2_i
		.amdhsa_group_segment_fixed_size 0
		.amdhsa_private_segment_fixed_size 0
		.amdhsa_kernarg_size 280
		.amdhsa_user_sgpr_count 6
		.amdhsa_user_sgpr_private_segment_buffer 1
		.amdhsa_user_sgpr_dispatch_ptr 0
		.amdhsa_user_sgpr_queue_ptr 0
		.amdhsa_user_sgpr_kernarg_segment_ptr 1
		.amdhsa_user_sgpr_dispatch_id 0
		.amdhsa_user_sgpr_flat_scratch_init 0
		.amdhsa_user_sgpr_kernarg_preload_length 0
		.amdhsa_user_sgpr_kernarg_preload_offset 0
		.amdhsa_user_sgpr_private_segment_size 0
		.amdhsa_uses_dynamic_stack 0
		.amdhsa_system_sgpr_private_segment_wavefront_offset 0
		.amdhsa_system_sgpr_workgroup_id_x 1
		.amdhsa_system_sgpr_workgroup_id_y 0
		.amdhsa_system_sgpr_workgroup_id_z 0
		.amdhsa_system_sgpr_workgroup_info 0
		.amdhsa_system_vgpr_workitem_id 0
		.amdhsa_next_free_vgpr 30
		.amdhsa_next_free_sgpr 24
		.amdhsa_accum_offset 32
		.amdhsa_reserve_vcc 1
		.amdhsa_reserve_flat_scratch 0
		.amdhsa_float_round_mode_32 0
		.amdhsa_float_round_mode_16_64 0
		.amdhsa_float_denorm_mode_32 3
		.amdhsa_float_denorm_mode_16_64 3
		.amdhsa_dx10_clamp 1
		.amdhsa_ieee_mode 1
		.amdhsa_fp16_overflow 0
		.amdhsa_tg_split 0
		.amdhsa_exception_fp_ieee_invalid_op 0
		.amdhsa_exception_fp_denorm_src 0
		.amdhsa_exception_fp_ieee_div_zero 0
		.amdhsa_exception_fp_ieee_overflow 0
		.amdhsa_exception_fp_ieee_underflow 0
		.amdhsa_exception_fp_ieee_inexact 0
		.amdhsa_exception_int_div_zero 0
	.end_amdhsa_kernel
	.section	.text._ZN4vllm17activation_kernelIfTnPFT_RKS1_EXadL_ZNS_17gelu_quick_kernelIfEES1_S3_EELb0ELb0EEEvPS1_PS2_i,"axG",@progbits,_ZN4vllm17activation_kernelIfTnPFT_RKS1_EXadL_ZNS_17gelu_quick_kernelIfEES1_S3_EELb0ELb0EEEvPS1_PS2_i,comdat
.Lfunc_end83:
	.size	_ZN4vllm17activation_kernelIfTnPFT_RKS1_EXadL_ZNS_17gelu_quick_kernelIfEES1_S3_EELb0ELb0EEEvPS1_PS2_i, .Lfunc_end83-_ZN4vllm17activation_kernelIfTnPFT_RKS1_EXadL_ZNS_17gelu_quick_kernelIfEES1_S3_EELb0ELb0EEEvPS1_PS2_i
                                        ; -- End function
	.section	.AMDGPU.csdata,"",@progbits
; Kernel info:
; codeLenInByte = 1764
; NumSgprs: 28
; NumVgprs: 30
; NumAgprs: 0
; TotalNumVgprs: 30
; ScratchSize: 0
; MemoryBound: 0
; FloatMode: 240
; IeeeMode: 1
; LDSByteSize: 0 bytes/workgroup (compile time only)
; SGPRBlocks: 3
; VGPRBlocks: 3
; NumSGPRsForWavesPerEU: 28
; NumVGPRsForWavesPerEU: 30
; AccumOffset: 32
; Occupancy: 8
; WaveLimiterHint : 0
; COMPUTE_PGM_RSRC2:SCRATCH_EN: 0
; COMPUTE_PGM_RSRC2:USER_SGPR: 6
; COMPUTE_PGM_RSRC2:TRAP_HANDLER: 0
; COMPUTE_PGM_RSRC2:TGID_X_EN: 1
; COMPUTE_PGM_RSRC2:TGID_Y_EN: 0
; COMPUTE_PGM_RSRC2:TGID_Z_EN: 0
; COMPUTE_PGM_RSRC2:TIDIG_COMP_CNT: 0
; COMPUTE_PGM_RSRC3_GFX90A:ACCUM_OFFSET: 7
; COMPUTE_PGM_RSRC3_GFX90A:TG_SPLIT: 0
	.section	.text._ZN4vllm17activation_kernelIN3c104HalfETnPFT_RKS3_EXadL_ZNS_17gelu_quick_kernelIS2_EES3_S5_EELb0ELb0EEEvPS3_PS4_i,"axG",@progbits,_ZN4vllm17activation_kernelIN3c104HalfETnPFT_RKS3_EXadL_ZNS_17gelu_quick_kernelIS2_EES3_S5_EELb0ELb0EEEvPS3_PS4_i,comdat
	.protected	_ZN4vllm17activation_kernelIN3c104HalfETnPFT_RKS3_EXadL_ZNS_17gelu_quick_kernelIS2_EES3_S5_EELb0ELb0EEEvPS3_PS4_i ; -- Begin function _ZN4vllm17activation_kernelIN3c104HalfETnPFT_RKS3_EXadL_ZNS_17gelu_quick_kernelIS2_EES3_S5_EELb0ELb0EEEvPS3_PS4_i
	.globl	_ZN4vllm17activation_kernelIN3c104HalfETnPFT_RKS3_EXadL_ZNS_17gelu_quick_kernelIS2_EES3_S5_EELb0ELb0EEEvPS3_PS4_i
	.p2align	8
	.type	_ZN4vllm17activation_kernelIN3c104HalfETnPFT_RKS3_EXadL_ZNS_17gelu_quick_kernelIS2_EES3_S5_EELb0ELb0EEEvPS3_PS4_i,@function
_ZN4vllm17activation_kernelIN3c104HalfETnPFT_RKS3_EXadL_ZNS_17gelu_quick_kernelIS2_EES3_S5_EELb0ELb0EEEvPS3_PS4_i: ; @_ZN4vllm17activation_kernelIN3c104HalfETnPFT_RKS3_EXadL_ZNS_17gelu_quick_kernelIS2_EES3_S5_EELb0ELb0EEEvPS3_PS4_i
; %bb.0:
	s_load_dword s12, s[4:5], 0x10
	s_waitcnt lgkmcnt(0)
	v_cmp_gt_i32_e32 vcc, s12, v0
	s_and_saveexec_b64 s[0:1], vcc
	s_cbranch_execz .LBB84_14
; %bb.1:
	s_load_dword s0, s[4:5], 0x24
	s_ashr_i32 s13, s12, 31
	v_mov_b32_e32 v2, s13
	v_mov_b32_e32 v1, 0
	s_mov_b32 s22, 0
	s_waitcnt lgkmcnt(0)
	s_and_b32 s21, s0, 0xffff
	v_add_co_u32_e32 v4, vcc, s21, v0
	v_addc_co_u32_e64 v5, s[0:1], 0, 0, vcc
	v_cmp_lt_i64_e32 vcc, s[12:13], v[4:5]
	v_cndmask_b32_e32 v6, v2, v5, vcc
	v_mov_b32_e32 v2, s12
	v_cndmask_b32_e32 v3, v2, v4, vcc
	v_cmp_gt_i64_e32 vcc, s[12:13], v[4:5]
	v_cndmask_b32_e64 v2, 0, 1, vcc
	v_add_co_u32_e32 v4, vcc, v4, v2
	v_addc_co_u32_e32 v5, vcc, 0, v5, vcc
	v_sub_co_u32_e32 v3, vcc, v3, v4
	v_subb_co_u32_e32 v5, vcc, v6, v5, vcc
	v_mov_b32_e32 v4, v1
	v_cmp_ne_u64_e32 vcc, 0, v[4:5]
                                        ; implicit-def: $vgpr6_vgpr7
	s_and_saveexec_b64 s[0:1], vcc
	s_xor_b64 s[2:3], exec, s[0:1]
	s_cbranch_execz .LBB84_3
; %bb.2:
	v_cvt_f32_u32_e32 v4, s21
	v_mov_b32_e32 v6, 0x4f800000
	s_sub_u32 s0, 0, s21
	s_subb_u32 s1, 0, 0
	v_mac_f32_e32 v4, 0, v6
	v_rcp_f32_e32 v4, v4
	v_mul_f32_e32 v4, 0x5f7ffffc, v4
	v_mul_f32_e32 v6, 0x2f800000, v4
	v_trunc_f32_e32 v6, v6
	v_madmk_f32 v4, v6, 0xcf800000, v4
	v_cvt_u32_f32_e32 v6, v6
	v_cvt_u32_f32_e32 v4, v4
	v_mul_lo_u32 v7, s0, v6
	v_mul_hi_u32 v9, s0, v4
	v_mul_lo_u32 v8, s1, v4
	v_add_u32_e32 v7, v9, v7
	v_mul_lo_u32 v10, s0, v4
	v_add_u32_e32 v7, v7, v8
	v_mul_hi_u32 v9, v4, v10
	v_mul_lo_u32 v11, v4, v7
	v_mul_hi_u32 v8, v4, v7
	v_add_co_u32_e32 v9, vcc, v9, v11
	v_addc_co_u32_e32 v8, vcc, 0, v8, vcc
	v_mul_hi_u32 v12, v6, v10
	v_mul_lo_u32 v10, v6, v10
	v_add_co_u32_e32 v9, vcc, v9, v10
	v_mul_hi_u32 v11, v6, v7
	v_addc_co_u32_e32 v8, vcc, v8, v12, vcc
	v_addc_co_u32_e32 v9, vcc, 0, v11, vcc
	v_mul_lo_u32 v7, v6, v7
	v_add_co_u32_e32 v7, vcc, v8, v7
	v_addc_co_u32_e32 v8, vcc, 0, v9, vcc
	v_add_co_u32_e32 v4, vcc, v4, v7
	v_addc_co_u32_e32 v6, vcc, v6, v8, vcc
	v_mul_lo_u32 v7, s0, v6
	v_mul_hi_u32 v8, s0, v4
	v_add_u32_e32 v7, v8, v7
	v_mul_lo_u32 v8, s1, v4
	v_add_u32_e32 v7, v7, v8
	v_mul_lo_u32 v9, s0, v4
	v_mul_hi_u32 v10, v6, v9
	v_mul_lo_u32 v11, v6, v9
	v_mul_lo_u32 v13, v4, v7
	v_mul_hi_u32 v9, v4, v9
	v_mul_hi_u32 v12, v4, v7
	v_add_co_u32_e32 v9, vcc, v9, v13
	v_addc_co_u32_e32 v12, vcc, 0, v12, vcc
	v_add_co_u32_e32 v9, vcc, v9, v11
	v_mul_hi_u32 v8, v6, v7
	v_addc_co_u32_e32 v9, vcc, v12, v10, vcc
	v_addc_co_u32_e32 v8, vcc, 0, v8, vcc
	v_mul_lo_u32 v7, v6, v7
	v_add_co_u32_e32 v7, vcc, v9, v7
	v_addc_co_u32_e32 v8, vcc, 0, v8, vcc
	v_add_co_u32_e32 v4, vcc, v4, v7
	v_addc_co_u32_e32 v8, vcc, v6, v8, vcc
	v_mad_u64_u32 v[6:7], s[0:1], v3, v8, 0
	v_mul_hi_u32 v9, v3, v4
	v_add_co_u32_e32 v10, vcc, v9, v6
	v_addc_co_u32_e32 v11, vcc, 0, v7, vcc
	v_mad_u64_u32 v[6:7], s[0:1], v5, v8, 0
	v_mad_u64_u32 v[8:9], s[0:1], v5, v4, 0
	v_add_co_u32_e32 v4, vcc, v10, v8
	v_addc_co_u32_e32 v4, vcc, v11, v9, vcc
	v_addc_co_u32_e32 v7, vcc, 0, v7, vcc
	v_add_co_u32_e32 v10, vcc, v4, v6
	v_addc_co_u32_e32 v11, vcc, 0, v7, vcc
	v_mad_u64_u32 v[6:7], s[0:1], s21, v10, 0
	v_mov_b32_e32 v4, v7
	v_mad_u64_u32 v[8:9], s[0:1], s21, v11, v[4:5]
	v_sub_co_u32_e32 v3, vcc, v3, v6
	v_subb_co_u32_e32 v4, vcc, v5, v8, vcc
	v_subrev_co_u32_e32 v5, vcc, s21, v3
	v_subbrev_co_u32_e32 v6, vcc, 0, v4, vcc
	v_cmp_le_u32_e32 vcc, s21, v5
	v_cndmask_b32_e64 v5, 0, -1, vcc
	v_cmp_eq_u32_e32 vcc, 0, v6
	v_cndmask_b32_e32 v5, -1, v5, vcc
	v_add_co_u32_e32 v6, vcc, 2, v10
	v_addc_co_u32_e32 v7, vcc, 0, v11, vcc
	v_add_co_u32_e32 v8, vcc, 1, v10
	v_cmp_le_u32_e64 s[0:1], s21, v3
	v_addc_co_u32_e32 v9, vcc, 0, v11, vcc
	v_cndmask_b32_e64 v3, 0, -1, s[0:1]
	v_cmp_eq_u32_e64 s[0:1], 0, v4
	v_cmp_ne_u32_e32 vcc, 0, v5
	v_cndmask_b32_e64 v3, -1, v3, s[0:1]
	v_cndmask_b32_e32 v5, v9, v7, vcc
	v_cmp_ne_u32_e64 s[0:1], 0, v3
	v_cndmask_b32_e32 v3, v8, v6, vcc
	v_cndmask_b32_e64 v7, v11, v5, s[0:1]
	v_cndmask_b32_e64 v6, v10, v3, s[0:1]
                                        ; implicit-def: $vgpr3
.LBB84_3:
	s_andn2_saveexec_b64 s[0:1], s[2:3]
	s_cbranch_execz .LBB84_5
; %bb.4:
	v_cvt_f32_u32_e32 v4, s21
	s_sub_i32 s2, 0, s21
	v_mov_b32_e32 v7, 0
	v_rcp_iflag_f32_e32 v4, v4
	v_mul_f32_e32 v4, 0x4f7ffffe, v4
	v_cvt_u32_f32_e32 v4, v4
	v_mul_lo_u32 v5, s2, v4
	v_mul_hi_u32 v5, v4, v5
	v_add_u32_e32 v4, v4, v5
	v_mul_hi_u32 v4, v3, v4
	v_mul_lo_u32 v5, v4, s21
	v_sub_u32_e32 v3, v3, v5
	v_add_u32_e32 v6, 1, v4
	v_subrev_u32_e32 v5, s21, v3
	v_cmp_le_u32_e32 vcc, s21, v3
	v_cndmask_b32_e32 v3, v3, v5, vcc
	v_cndmask_b32_e32 v4, v4, v6, vcc
	v_add_u32_e32 v5, 1, v4
	v_cmp_le_u32_e32 vcc, s21, v3
	v_cndmask_b32_e32 v6, v4, v5, vcc
.LBB84_5:
	s_or_b64 exec, exec, s[0:1]
	v_add_co_u32_e32 v2, vcc, v6, v2
	s_load_dwordx4 s[8:11], s[4:5], 0x0
	v_addc_co_u32_e32 v3, vcc, 0, v7, vcc
	v_add_co_u32_e32 v2, vcc, 1, v2
	v_addc_co_u32_e32 v3, vcc, 0, v3, vcc
	s_mul_i32 s0, s6, s12
	s_mov_b32 s1, 0
	v_cmp_gt_u64_e32 vcc, 4, v[2:3]
	v_cmp_ne_u16_e64 s[2:3], s21, 1
                                        ; kill: def $vgpr4_vgpr5 killed $sgpr0_sgpr1 killed $exec
	s_or_b64 s[4:5], vcc, s[2:3]
	s_mov_b64 s[6:7], 0
	v_mov_b32_e32 v5, v3
                                        ; implicit-def: $sgpr2_sgpr3
	s_and_saveexec_b64 s[14:15], s[4:5]
	s_xor_b64 s[4:5], exec, s[14:15]
	s_cbranch_execnz .LBB84_8
; %bb.6:
	s_or_saveexec_b64 s[14:15], s[4:5]
	v_pk_mov_b32 v[6:7], s[2:3], s[2:3] op_sel:[0,1]
	s_xor_b64 exec, exec, s[14:15]
	s_cbranch_execnz .LBB84_9
.LBB84_7:
	s_or_b64 exec, exec, s[14:15]
	s_and_b64 exec, exec, s[6:7]
	s_cbranch_execnz .LBB84_12
	s_branch .LBB84_14
.LBB84_8:
	s_mov_b64 s[6:7], exec
	s_lshl_b64 s[2:3], s[0:1], 1
                                        ; implicit-def: $vgpr2_vgpr3
                                        ; implicit-def: $vgpr5
	s_or_saveexec_b64 s[14:15], s[4:5]
	v_pk_mov_b32 v[6:7], s[2:3], s[2:3] op_sel:[0,1]
	s_xor_b64 exec, exec, s[14:15]
	s_cbranch_execz .LBB84_7
.LBB84_9:
	v_lshlrev_b32_e32 v6, 1, v0
	s_lshl_b64 s[16:17], s[0:1], 1
	v_and_b32_e32 v4, -4, v2
	s_mov_b32 s2, 0
	v_mov_b32_e32 v7, s17
	v_add_co_u32_e32 v6, vcc, s16, v6
	v_addc_co_u32_e32 v7, vcc, 0, v7, vcc
	s_lshl_b32 s23, s21, 3
	s_mov_b64 s[18:19], 0
	s_waitcnt lgkmcnt(0)
	v_mov_b32_e32 v14, s11
	s_mov_b32 s20, 0xbfd9db23
	s_mov_b32 s24, 0x3fb8aa3b
	;; [unrolled: 1-line block ×4, first 2 shown]
	v_mov_b32_e32 v15, 0x7f800000
	v_mov_b32_e32 v16, s9
	;; [unrolled: 1-line block ×3, first 2 shown]
	v_pk_mov_b32 v[8:9], v[4:5], v[4:5] op_sel:[0,1]
.LBB84_10:                              ; =>This Inner Loop Header: Depth=1
	v_add_co_u32_e32 v10, vcc, s10, v6
	v_addc_co_u32_e32 v11, vcc, v14, v7, vcc
	global_load_dwordx2 v[10:11], v[10:11], off
	v_add_co_u32_e32 v12, vcc, s8, v6
	v_addc_co_u32_e32 v13, vcc, v16, v7, vcc
	v_add_co_u32_e32 v8, vcc, -4, v8
	v_addc_co_u32_e32 v9, vcc, -1, v9, vcc
	v_add_co_u32_e32 v6, vcc, s23, v6
	v_addc_co_u32_e32 v7, vcc, v7, v17, vcc
	s_waitcnt vmcnt(0)
	v_cvt_f32_f16_e32 v18, v10
	v_cvt_f32_f16_sdwa v19, v10 dst_sel:DWORD dst_unused:UNUSED_PAD src0_sel:WORD_1
	v_cvt_f32_f16_e32 v20, v11
	v_cvt_f32_f16_sdwa v21, v11 dst_sel:DWORD dst_unused:UNUSED_PAD src0_sel:WORD_1
	v_pk_mul_f32 v[22:23], v[18:19], s[20:21] op_sel_hi:[1,0]
	v_mul_f32_e32 v24, 0x3fb8aa3b, v23
	v_pk_mul_f32 v[10:11], v[20:21], s[20:21] op_sel_hi:[1,0]
	v_mul_f32_e32 v25, 0x3fb8aa3b, v22
	v_mul_f32_e32 v26, 0x3fb8aa3b, v11
	;; [unrolled: 1-line block ×3, first 2 shown]
	v_fma_f32 v28, v23, s24, -v24
	v_rndne_f32_e32 v29, v24
	v_fma_f32 v30, v22, s24, -v25
	v_rndne_f32_e32 v31, v25
	;; [unrolled: 2-line block ×4, first 2 shown]
	v_fmac_f32_e32 v28, 0x32a5705f, v23
	v_sub_f32_e32 v24, v24, v29
	v_fmac_f32_e32 v30, 0x32a5705f, v22
	v_sub_f32_e32 v25, v25, v31
	;; [unrolled: 2-line block ×4, first 2 shown]
	v_add_f32_e32 v24, v24, v28
	v_add_f32_e32 v25, v25, v30
	v_cvt_i32_f32_e32 v29, v29
	v_cvt_i32_f32_e32 v31, v31
	v_add_f32_e32 v26, v26, v32
	v_add_f32_e32 v27, v27, v34
	v_exp_f32_e32 v24, v24
	v_exp_f32_e32 v25, v25
	v_cvt_i32_f32_e32 v33, v33
	v_cvt_i32_f32_e32 v35, v35
	v_exp_f32_e32 v26, v26
	v_exp_f32_e32 v27, v27
	v_ldexp_f32 v24, v24, v29
	v_ldexp_f32 v25, v25, v31
	v_cmp_ngt_f32_e32 vcc, s25, v22
	v_cmp_ngt_f32_e64 s[4:5], s25, v23
	v_ldexp_f32 v26, v26, v33
	v_cmp_ngt_f32_e64 s[0:1], s25, v11
	v_ldexp_f32 v27, v27, v35
	v_cmp_ngt_f32_e64 s[2:3], s25, v10
	v_cndmask_b32_e64 v24, 0, v24, s[4:5]
	v_cndmask_b32_e32 v25, 0, v25, vcc
	v_cmp_nlt_f32_e32 vcc, s26, v22
	v_cmp_nlt_f32_e64 s[4:5], s26, v23
	v_cndmask_b32_e64 v22, 0, v26, s[0:1]
	v_cmp_nlt_f32_e64 s[0:1], s26, v11
	v_cndmask_b32_e64 v26, 0, v27, s[2:3]
	;; [unrolled: 2-line block ×3, first 2 shown]
	v_cndmask_b32_e32 v10, v15, v25, vcc
	v_pk_add_f32 v[10:11], v[10:11], 1.0 op_sel_hi:[1,0]
	v_cndmask_b32_e64 v23, v15, v22, s[0:1]
	v_cndmask_b32_e64 v22, v15, v26, s[2:3]
	v_div_scale_f32 v24, s[0:1], v10, v10, v18
	v_pk_add_f32 v[22:23], v[22:23], 1.0 op_sel_hi:[1,0]
	v_div_scale_f32 v26, s[0:1], v11, v11, v19
	v_rcp_f32_e32 v32, v24
	v_div_scale_f32 v28, s[2:3], v22, v22, v20
	v_rcp_f32_e32 v33, v26
	;; [unrolled: 2-line block ×3, first 2 shown]
	v_rcp_f32_e32 v35, v30
	v_fma_f32 v36, -v24, v32, 1.0
	v_div_scale_f32 v25, vcc, v18, v10, v18
	v_fma_f32 v37, -v26, v33, 1.0
	v_fmac_f32_e32 v32, v36, v32
	v_div_scale_f32 v27, s[0:1], v19, v11, v19
	v_fma_f32 v38, -v28, v34, 1.0
	v_fmac_f32_e32 v33, v37, v33
	v_mul_f32_e32 v36, v25, v32
	v_div_scale_f32 v29, s[2:3], v20, v22, v20
	v_fma_f32 v39, -v30, v35, 1.0
	v_fmac_f32_e32 v34, v38, v34
	v_mul_f32_e32 v37, v27, v33
	v_fma_f32 v40, -v24, v36, v25
	v_div_scale_f32 v31, s[4:5], v21, v23, v21
	v_fmac_f32_e32 v35, v39, v35
	v_mul_f32_e32 v38, v29, v34
	v_fma_f32 v41, -v26, v37, v27
	v_fmac_f32_e32 v36, v40, v32
	v_mul_f32_e32 v39, v31, v35
	v_fma_f32 v42, -v28, v38, v29
	v_fmac_f32_e32 v37, v41, v33
	v_fma_f32 v24, -v24, v36, v25
	v_fma_f32 v43, -v30, v39, v31
	v_fmac_f32_e32 v38, v42, v34
	v_fma_f32 v25, -v26, v37, v27
	v_div_fmas_f32 v24, v24, v32, v36
	s_mov_b64 vcc, s[0:1]
	v_fmac_f32_e32 v39, v43, v35
	v_fma_f32 v26, -v28, v38, v29
	v_div_fixup_f32 v10, v24, v10, v18
	v_div_fmas_f32 v18, v25, v33, v37
	s_mov_b64 vcc, s[2:3]
	v_fma_f32 v27, -v30, v39, v31
	v_div_fixup_f32 v11, v18, v11, v19
	v_div_fmas_f32 v18, v26, v34, v38
	s_mov_b64 vcc, s[4:5]
	v_div_fmas_f32 v19, v27, v35, v39
	v_div_fixup_f32 v18, v18, v22, v20
	v_div_fixup_f32 v19, v19, v23, v21
	v_cvt_f16_f32_e32 v10, v10
	v_cvt_f16_f32_e32 v11, v11
	;; [unrolled: 1-line block ×4, first 2 shown]
	v_cmp_eq_u64_e32 vcc, 0, v[8:9]
	s_or_b64 s[18:19], vcc, s[18:19]
	v_pack_b32_f16 v10, v10, v11
	v_pack_b32_f16 v11, v18, v19
	global_store_dwordx2 v[12:13], v[10:11], off
	s_andn2_b64 exec, exec, s[18:19]
	s_cbranch_execnz .LBB84_10
; %bb.11:
	s_or_b64 exec, exec, s[18:19]
	v_mad_u64_u32 v[0:1], s[0:1], v4, s21, v[0:1]
	v_mov_b32_e32 v6, v1
	v_mad_u64_u32 v[6:7], s[0:1], v5, s21, v[6:7]
	v_cmp_ne_u64_e32 vcc, v[2:3], v[4:5]
	s_andn2_b64 s[0:1], s[6:7], exec
	s_and_b64 s[2:3], vcc, exec
	v_mov_b32_e32 v1, v6
	v_pk_mov_b32 v[6:7], s[16:17], s[16:17] op_sel:[0,1]
	s_or_b64 s[6:7], s[0:1], s[2:3]
	s_or_b64 exec, exec, s[14:15]
	s_and_b64 exec, exec, s[6:7]
	s_cbranch_execz .LBB84_14
.LBB84_12:
	v_lshlrev_b64 v[2:3], 1, v[0:1]
	v_add_co_u32_e32 v2, vcc, v2, v6
	s_mov_b32 s0, 0
	v_addc_co_u32_e32 v3, vcc, v3, v7, vcc
	s_lshl_b32 s4, s21, 1
	s_mov_b64 s[2:3], 0
	s_waitcnt lgkmcnt(0)
	v_mov_b32_e32 v4, s11
	s_mov_b32 s5, 0x3fb8aa3b
	s_mov_b32 s6, 0xc2ce8ed0
	;; [unrolled: 1-line block ×3, first 2 shown]
	v_mov_b32_e32 v5, 0x7f800000
	v_mov_b32_e32 v6, s9
	;; [unrolled: 1-line block ×4, first 2 shown]
.LBB84_13:                              ; =>This Inner Loop Header: Depth=1
	v_add_co_u32_e32 v10, vcc, s10, v2
	v_addc_co_u32_e32 v11, vcc, v4, v3, vcc
	global_load_ushort v9, v[10:11], off
	v_add_co_u32_e32 v10, vcc, s8, v2
	v_addc_co_u32_e32 v11, vcc, v6, v3, vcc
	v_add_co_u32_e32 v0, vcc, s21, v0
	v_addc_co_u32_e32 v1, vcc, v1, v7, vcc
	v_add_co_u32_e64 v2, s[0:1], s4, v2
	s_waitcnt vmcnt(0)
	v_cvt_f32_f16_e32 v9, v9
	v_mul_f32_e32 v12, 0xbfd9db23, v9
	v_mul_f32_e32 v13, 0x3fb8aa3b, v12
	v_fma_f32 v14, v12, s5, -v13
	v_rndne_f32_e32 v15, v13
	v_fmac_f32_e32 v14, 0x32a5705f, v12
	v_sub_f32_e32 v13, v13, v15
	v_add_f32_e32 v13, v13, v14
	v_cvt_i32_f32_e32 v15, v15
	v_exp_f32_e32 v13, v13
	v_cmp_ngt_f32_e32 vcc, s6, v12
	v_ldexp_f32 v13, v13, v15
	v_cndmask_b32_e32 v13, 0, v13, vcc
	v_cmp_nlt_f32_e32 vcc, s7, v12
	v_cndmask_b32_e32 v12, v5, v13, vcc
	v_add_f32_e32 v12, 1.0, v12
	v_div_scale_f32 v13, s[14:15], v12, v12, v9
	v_rcp_f32_e32 v14, v13
	v_div_scale_f32 v15, vcc, v9, v12, v9
	v_fma_f32 v16, -v13, v14, 1.0
	v_fmac_f32_e32 v14, v16, v14
	v_mul_f32_e32 v16, v15, v14
	v_fma_f32 v17, -v13, v16, v15
	v_fmac_f32_e32 v16, v17, v14
	v_fma_f32 v13, -v13, v16, v15
	v_div_fmas_f32 v13, v13, v14, v16
	v_div_fixup_f32 v9, v13, v12, v9
	v_cvt_f16_f32_e32 v9, v9
	v_addc_co_u32_e64 v3, vcc, v3, v8, s[0:1]
	v_cmp_le_i64_e32 vcc, s[12:13], v[0:1]
	s_or_b64 s[2:3], vcc, s[2:3]
	global_store_short v[10:11], v9, off
	s_andn2_b64 exec, exec, s[2:3]
	s_cbranch_execnz .LBB84_13
.LBB84_14:
	s_endpgm
	.section	.rodata,"a",@progbits
	.p2align	6, 0x0
	.amdhsa_kernel _ZN4vllm17activation_kernelIN3c104HalfETnPFT_RKS3_EXadL_ZNS_17gelu_quick_kernelIS2_EES3_S5_EELb0ELb0EEEvPS3_PS4_i
		.amdhsa_group_segment_fixed_size 0
		.amdhsa_private_segment_fixed_size 0
		.amdhsa_kernarg_size 280
		.amdhsa_user_sgpr_count 6
		.amdhsa_user_sgpr_private_segment_buffer 1
		.amdhsa_user_sgpr_dispatch_ptr 0
		.amdhsa_user_sgpr_queue_ptr 0
		.amdhsa_user_sgpr_kernarg_segment_ptr 1
		.amdhsa_user_sgpr_dispatch_id 0
		.amdhsa_user_sgpr_flat_scratch_init 0
		.amdhsa_user_sgpr_kernarg_preload_length 0
		.amdhsa_user_sgpr_kernarg_preload_offset 0
		.amdhsa_user_sgpr_private_segment_size 0
		.amdhsa_uses_dynamic_stack 0
		.amdhsa_system_sgpr_private_segment_wavefront_offset 0
		.amdhsa_system_sgpr_workgroup_id_x 1
		.amdhsa_system_sgpr_workgroup_id_y 0
		.amdhsa_system_sgpr_workgroup_id_z 0
		.amdhsa_system_sgpr_workgroup_info 0
		.amdhsa_system_vgpr_workitem_id 0
		.amdhsa_next_free_vgpr 44
		.amdhsa_next_free_sgpr 27
		.amdhsa_accum_offset 44
		.amdhsa_reserve_vcc 1
		.amdhsa_reserve_flat_scratch 0
		.amdhsa_float_round_mode_32 0
		.amdhsa_float_round_mode_16_64 0
		.amdhsa_float_denorm_mode_32 3
		.amdhsa_float_denorm_mode_16_64 3
		.amdhsa_dx10_clamp 1
		.amdhsa_ieee_mode 1
		.amdhsa_fp16_overflow 0
		.amdhsa_tg_split 0
		.amdhsa_exception_fp_ieee_invalid_op 0
		.amdhsa_exception_fp_denorm_src 0
		.amdhsa_exception_fp_ieee_div_zero 0
		.amdhsa_exception_fp_ieee_overflow 0
		.amdhsa_exception_fp_ieee_underflow 0
		.amdhsa_exception_fp_ieee_inexact 0
		.amdhsa_exception_int_div_zero 0
	.end_amdhsa_kernel
	.section	.text._ZN4vllm17activation_kernelIN3c104HalfETnPFT_RKS3_EXadL_ZNS_17gelu_quick_kernelIS2_EES3_S5_EELb0ELb0EEEvPS3_PS4_i,"axG",@progbits,_ZN4vllm17activation_kernelIN3c104HalfETnPFT_RKS3_EXadL_ZNS_17gelu_quick_kernelIS2_EES3_S5_EELb0ELb0EEEvPS3_PS4_i,comdat
.Lfunc_end84:
	.size	_ZN4vllm17activation_kernelIN3c104HalfETnPFT_RKS3_EXadL_ZNS_17gelu_quick_kernelIS2_EES3_S5_EELb0ELb0EEEvPS3_PS4_i, .Lfunc_end84-_ZN4vllm17activation_kernelIN3c104HalfETnPFT_RKS3_EXadL_ZNS_17gelu_quick_kernelIS2_EES3_S5_EELb0ELb0EEEvPS3_PS4_i
                                        ; -- End function
	.section	.AMDGPU.csdata,"",@progbits
; Kernel info:
; codeLenInByte = 2172
; NumSgprs: 31
; NumVgprs: 44
; NumAgprs: 0
; TotalNumVgprs: 44
; ScratchSize: 0
; MemoryBound: 0
; FloatMode: 240
; IeeeMode: 1
; LDSByteSize: 0 bytes/workgroup (compile time only)
; SGPRBlocks: 3
; VGPRBlocks: 5
; NumSGPRsForWavesPerEU: 31
; NumVGPRsForWavesPerEU: 44
; AccumOffset: 44
; Occupancy: 8
; WaveLimiterHint : 0
; COMPUTE_PGM_RSRC2:SCRATCH_EN: 0
; COMPUTE_PGM_RSRC2:USER_SGPR: 6
; COMPUTE_PGM_RSRC2:TRAP_HANDLER: 0
; COMPUTE_PGM_RSRC2:TGID_X_EN: 1
; COMPUTE_PGM_RSRC2:TGID_Y_EN: 0
; COMPUTE_PGM_RSRC2:TGID_Z_EN: 0
; COMPUTE_PGM_RSRC2:TIDIG_COMP_CNT: 0
; COMPUTE_PGM_RSRC3_GFX90A:ACCUM_OFFSET: 10
; COMPUTE_PGM_RSRC3_GFX90A:TG_SPLIT: 0
	.section	.text._ZN4vllm17activation_kernelIN3c108BFloat16ETnPFT_RKS3_EXadL_ZNS_17gelu_quick_kernelIS2_EES3_S5_EELb0ELb0EEEvPS3_PS4_i,"axG",@progbits,_ZN4vllm17activation_kernelIN3c108BFloat16ETnPFT_RKS3_EXadL_ZNS_17gelu_quick_kernelIS2_EES3_S5_EELb0ELb0EEEvPS3_PS4_i,comdat
	.protected	_ZN4vllm17activation_kernelIN3c108BFloat16ETnPFT_RKS3_EXadL_ZNS_17gelu_quick_kernelIS2_EES3_S5_EELb0ELb0EEEvPS3_PS4_i ; -- Begin function _ZN4vllm17activation_kernelIN3c108BFloat16ETnPFT_RKS3_EXadL_ZNS_17gelu_quick_kernelIS2_EES3_S5_EELb0ELb0EEEvPS3_PS4_i
	.globl	_ZN4vllm17activation_kernelIN3c108BFloat16ETnPFT_RKS3_EXadL_ZNS_17gelu_quick_kernelIS2_EES3_S5_EELb0ELb0EEEvPS3_PS4_i
	.p2align	8
	.type	_ZN4vllm17activation_kernelIN3c108BFloat16ETnPFT_RKS3_EXadL_ZNS_17gelu_quick_kernelIS2_EES3_S5_EELb0ELb0EEEvPS3_PS4_i,@function
_ZN4vllm17activation_kernelIN3c108BFloat16ETnPFT_RKS3_EXadL_ZNS_17gelu_quick_kernelIS2_EES3_S5_EELb0ELb0EEEvPS3_PS4_i: ; @_ZN4vllm17activation_kernelIN3c108BFloat16ETnPFT_RKS3_EXadL_ZNS_17gelu_quick_kernelIS2_EES3_S5_EELb0ELb0EEEvPS3_PS4_i
; %bb.0:
	s_load_dword s12, s[4:5], 0x10
	s_waitcnt lgkmcnt(0)
	v_cmp_gt_i32_e32 vcc, s12, v0
	s_and_saveexec_b64 s[0:1], vcc
	s_cbranch_execz .LBB85_14
; %bb.1:
	s_load_dword s0, s[4:5], 0x24
	s_ashr_i32 s13, s12, 31
	v_mov_b32_e32 v2, s13
	v_mov_b32_e32 v1, 0
	s_mov_b32 s22, 0
	s_waitcnt lgkmcnt(0)
	s_and_b32 s21, s0, 0xffff
	v_add_co_u32_e32 v4, vcc, s21, v0
	v_addc_co_u32_e64 v5, s[0:1], 0, 0, vcc
	v_cmp_lt_i64_e32 vcc, s[12:13], v[4:5]
	v_cndmask_b32_e32 v6, v2, v5, vcc
	v_mov_b32_e32 v2, s12
	v_cndmask_b32_e32 v3, v2, v4, vcc
	v_cmp_gt_i64_e32 vcc, s[12:13], v[4:5]
	v_cndmask_b32_e64 v2, 0, 1, vcc
	v_add_co_u32_e32 v4, vcc, v4, v2
	v_addc_co_u32_e32 v5, vcc, 0, v5, vcc
	v_sub_co_u32_e32 v3, vcc, v3, v4
	v_subb_co_u32_e32 v5, vcc, v6, v5, vcc
	v_mov_b32_e32 v4, v1
	v_cmp_ne_u64_e32 vcc, 0, v[4:5]
                                        ; implicit-def: $vgpr6_vgpr7
	s_and_saveexec_b64 s[0:1], vcc
	s_xor_b64 s[2:3], exec, s[0:1]
	s_cbranch_execz .LBB85_3
; %bb.2:
	v_cvt_f32_u32_e32 v4, s21
	v_mov_b32_e32 v6, 0x4f800000
	s_sub_u32 s0, 0, s21
	s_subb_u32 s1, 0, 0
	v_mac_f32_e32 v4, 0, v6
	v_rcp_f32_e32 v4, v4
	v_mul_f32_e32 v4, 0x5f7ffffc, v4
	v_mul_f32_e32 v6, 0x2f800000, v4
	v_trunc_f32_e32 v6, v6
	v_madmk_f32 v4, v6, 0xcf800000, v4
	v_cvt_u32_f32_e32 v6, v6
	v_cvt_u32_f32_e32 v4, v4
	v_mul_lo_u32 v7, s0, v6
	v_mul_hi_u32 v9, s0, v4
	v_mul_lo_u32 v8, s1, v4
	v_add_u32_e32 v7, v9, v7
	v_mul_lo_u32 v10, s0, v4
	v_add_u32_e32 v7, v7, v8
	v_mul_hi_u32 v9, v4, v10
	v_mul_lo_u32 v11, v4, v7
	v_mul_hi_u32 v8, v4, v7
	v_add_co_u32_e32 v9, vcc, v9, v11
	v_addc_co_u32_e32 v8, vcc, 0, v8, vcc
	v_mul_hi_u32 v12, v6, v10
	v_mul_lo_u32 v10, v6, v10
	v_add_co_u32_e32 v9, vcc, v9, v10
	v_mul_hi_u32 v11, v6, v7
	v_addc_co_u32_e32 v8, vcc, v8, v12, vcc
	v_addc_co_u32_e32 v9, vcc, 0, v11, vcc
	v_mul_lo_u32 v7, v6, v7
	v_add_co_u32_e32 v7, vcc, v8, v7
	v_addc_co_u32_e32 v8, vcc, 0, v9, vcc
	v_add_co_u32_e32 v4, vcc, v4, v7
	v_addc_co_u32_e32 v6, vcc, v6, v8, vcc
	v_mul_lo_u32 v7, s0, v6
	v_mul_hi_u32 v8, s0, v4
	v_add_u32_e32 v7, v8, v7
	v_mul_lo_u32 v8, s1, v4
	v_add_u32_e32 v7, v7, v8
	v_mul_lo_u32 v9, s0, v4
	v_mul_hi_u32 v10, v6, v9
	v_mul_lo_u32 v11, v6, v9
	v_mul_lo_u32 v13, v4, v7
	v_mul_hi_u32 v9, v4, v9
	v_mul_hi_u32 v12, v4, v7
	v_add_co_u32_e32 v9, vcc, v9, v13
	v_addc_co_u32_e32 v12, vcc, 0, v12, vcc
	v_add_co_u32_e32 v9, vcc, v9, v11
	v_mul_hi_u32 v8, v6, v7
	v_addc_co_u32_e32 v9, vcc, v12, v10, vcc
	v_addc_co_u32_e32 v8, vcc, 0, v8, vcc
	v_mul_lo_u32 v7, v6, v7
	v_add_co_u32_e32 v7, vcc, v9, v7
	v_addc_co_u32_e32 v8, vcc, 0, v8, vcc
	v_add_co_u32_e32 v4, vcc, v4, v7
	v_addc_co_u32_e32 v8, vcc, v6, v8, vcc
	v_mad_u64_u32 v[6:7], s[0:1], v3, v8, 0
	v_mul_hi_u32 v9, v3, v4
	v_add_co_u32_e32 v10, vcc, v9, v6
	v_addc_co_u32_e32 v11, vcc, 0, v7, vcc
	v_mad_u64_u32 v[6:7], s[0:1], v5, v8, 0
	v_mad_u64_u32 v[8:9], s[0:1], v5, v4, 0
	v_add_co_u32_e32 v4, vcc, v10, v8
	v_addc_co_u32_e32 v4, vcc, v11, v9, vcc
	v_addc_co_u32_e32 v7, vcc, 0, v7, vcc
	v_add_co_u32_e32 v10, vcc, v4, v6
	v_addc_co_u32_e32 v11, vcc, 0, v7, vcc
	v_mad_u64_u32 v[6:7], s[0:1], s21, v10, 0
	v_mov_b32_e32 v4, v7
	v_mad_u64_u32 v[8:9], s[0:1], s21, v11, v[4:5]
	v_sub_co_u32_e32 v3, vcc, v3, v6
	v_subb_co_u32_e32 v4, vcc, v5, v8, vcc
	v_subrev_co_u32_e32 v5, vcc, s21, v3
	v_subbrev_co_u32_e32 v6, vcc, 0, v4, vcc
	v_cmp_le_u32_e32 vcc, s21, v5
	v_cndmask_b32_e64 v5, 0, -1, vcc
	v_cmp_eq_u32_e32 vcc, 0, v6
	v_cndmask_b32_e32 v5, -1, v5, vcc
	v_add_co_u32_e32 v6, vcc, 2, v10
	v_addc_co_u32_e32 v7, vcc, 0, v11, vcc
	v_add_co_u32_e32 v8, vcc, 1, v10
	v_cmp_le_u32_e64 s[0:1], s21, v3
	v_addc_co_u32_e32 v9, vcc, 0, v11, vcc
	v_cndmask_b32_e64 v3, 0, -1, s[0:1]
	v_cmp_eq_u32_e64 s[0:1], 0, v4
	v_cmp_ne_u32_e32 vcc, 0, v5
	v_cndmask_b32_e64 v3, -1, v3, s[0:1]
	v_cndmask_b32_e32 v5, v9, v7, vcc
	v_cmp_ne_u32_e64 s[0:1], 0, v3
	v_cndmask_b32_e32 v3, v8, v6, vcc
	v_cndmask_b32_e64 v7, v11, v5, s[0:1]
	v_cndmask_b32_e64 v6, v10, v3, s[0:1]
                                        ; implicit-def: $vgpr3
.LBB85_3:
	s_andn2_saveexec_b64 s[0:1], s[2:3]
	s_cbranch_execz .LBB85_5
; %bb.4:
	v_cvt_f32_u32_e32 v4, s21
	s_sub_i32 s2, 0, s21
	v_mov_b32_e32 v7, 0
	v_rcp_iflag_f32_e32 v4, v4
	v_mul_f32_e32 v4, 0x4f7ffffe, v4
	v_cvt_u32_f32_e32 v4, v4
	v_mul_lo_u32 v5, s2, v4
	v_mul_hi_u32 v5, v4, v5
	v_add_u32_e32 v4, v4, v5
	v_mul_hi_u32 v4, v3, v4
	v_mul_lo_u32 v5, v4, s21
	v_sub_u32_e32 v3, v3, v5
	v_add_u32_e32 v6, 1, v4
	v_subrev_u32_e32 v5, s21, v3
	v_cmp_le_u32_e32 vcc, s21, v3
	v_cndmask_b32_e32 v3, v3, v5, vcc
	v_cndmask_b32_e32 v4, v4, v6, vcc
	v_add_u32_e32 v5, 1, v4
	v_cmp_le_u32_e32 vcc, s21, v3
	v_cndmask_b32_e32 v6, v4, v5, vcc
.LBB85_5:
	s_or_b64 exec, exec, s[0:1]
	v_add_co_u32_e32 v2, vcc, v6, v2
	s_load_dwordx4 s[8:11], s[4:5], 0x0
	v_addc_co_u32_e32 v3, vcc, 0, v7, vcc
	v_add_co_u32_e32 v2, vcc, 1, v2
	v_addc_co_u32_e32 v3, vcc, 0, v3, vcc
	s_mul_i32 s0, s6, s12
	s_mov_b32 s1, 0
	v_cmp_gt_u64_e32 vcc, 4, v[2:3]
	v_cmp_ne_u16_e64 s[2:3], s21, 1
                                        ; kill: def $vgpr4_vgpr5 killed $sgpr0_sgpr1 killed $exec
	s_or_b64 s[4:5], vcc, s[2:3]
	s_mov_b64 s[6:7], 0
	v_mov_b32_e32 v5, v3
                                        ; implicit-def: $sgpr2_sgpr3
	s_and_saveexec_b64 s[14:15], s[4:5]
	s_xor_b64 s[4:5], exec, s[14:15]
	s_cbranch_execnz .LBB85_8
; %bb.6:
	s_or_saveexec_b64 s[14:15], s[4:5]
	v_pk_mov_b32 v[6:7], s[2:3], s[2:3] op_sel:[0,1]
	s_xor_b64 exec, exec, s[14:15]
	s_cbranch_execnz .LBB85_9
.LBB85_7:
	s_or_b64 exec, exec, s[14:15]
	s_and_b64 exec, exec, s[6:7]
	s_cbranch_execnz .LBB85_12
	s_branch .LBB85_14
.LBB85_8:
	s_mov_b64 s[6:7], exec
	s_lshl_b64 s[2:3], s[0:1], 1
                                        ; implicit-def: $vgpr2_vgpr3
                                        ; implicit-def: $vgpr5
	s_or_saveexec_b64 s[14:15], s[4:5]
	v_pk_mov_b32 v[6:7], s[2:3], s[2:3] op_sel:[0,1]
	s_xor_b64 exec, exec, s[14:15]
	s_cbranch_execz .LBB85_7
.LBB85_9:
	v_lshlrev_b32_e32 v6, 1, v0
	s_lshl_b64 s[16:17], s[0:1], 1
	v_and_b32_e32 v4, -4, v2
	s_mov_b32 s2, 0
	v_mov_b32_e32 v7, s17
	v_add_co_u32_e32 v6, vcc, s16, v6
	v_addc_co_u32_e32 v7, vcc, 0, v7, vcc
	s_lshl_b32 s23, s21, 3
	s_mov_b64 s[18:19], 0
	s_waitcnt lgkmcnt(0)
	v_mov_b32_e32 v14, s11
	s_mov_b32 s20, 0xbfd9db23
	s_mov_b32 s24, 0x3fb8aa3b
	;; [unrolled: 1-line block ×4, first 2 shown]
	v_mov_b32_e32 v15, 0x7f800000
	s_movk_i32 s27, 0x7fff
	v_mov_b32_e32 v16, 0x7fc0
	s_mov_b32 s28, 0x5040100
	v_mov_b32_e32 v17, s9
	v_mov_b32_e32 v18, s2
	v_pk_mov_b32 v[8:9], v[4:5], v[4:5] op_sel:[0,1]
.LBB85_10:                              ; =>This Inner Loop Header: Depth=1
	v_add_co_u32_e32 v10, vcc, s10, v6
	v_addc_co_u32_e32 v11, vcc, v14, v7, vcc
	global_load_dwordx2 v[10:11], v[10:11], off
	v_add_co_u32_e32 v12, vcc, s8, v6
	v_addc_co_u32_e32 v13, vcc, v17, v7, vcc
	v_add_co_u32_e32 v8, vcc, -4, v8
	v_addc_co_u32_e32 v9, vcc, -1, v9, vcc
	v_add_co_u32_e32 v6, vcc, s23, v6
	v_addc_co_u32_e32 v7, vcc, v7, v18, vcc
	v_cmp_eq_u64_e32 vcc, 0, v[8:9]
	s_or_b64 s[18:19], vcc, s[18:19]
	s_waitcnt vmcnt(0)
	v_and_b32_e32 v21, 0xffff0000, v11
	v_lshlrev_b32_e32 v20, 16, v11
	v_and_b32_e32 v11, 0xffff0000, v10
	v_lshlrev_b32_e32 v10, 16, v10
	v_pk_mul_f32 v[24:25], v[20:21], s[20:21] op_sel_hi:[1,0]
	v_pk_mul_f32 v[22:23], v[10:11], s[20:21] op_sel_hi:[1,0]
	v_mul_f32_e32 v19, 0x3fb8aa3b, v25
	v_mul_f32_e32 v26, 0x3fb8aa3b, v24
	;; [unrolled: 1-line block ×4, first 2 shown]
	v_fma_f32 v29, v25, s24, -v19
	v_rndne_f32_e32 v30, v19
	v_fma_f32 v31, v24, s24, -v26
	v_rndne_f32_e32 v32, v26
	v_fma_f32 v33, v23, s24, -v27
	v_rndne_f32_e32 v34, v27
	v_fma_f32 v35, v22, s24, -v28
	v_rndne_f32_e32 v36, v28
	v_fmac_f32_e32 v29, 0x32a5705f, v25
	v_sub_f32_e32 v19, v19, v30
	v_fmac_f32_e32 v31, 0x32a5705f, v24
	v_sub_f32_e32 v26, v26, v32
	v_fmac_f32_e32 v33, 0x32a5705f, v23
	v_sub_f32_e32 v27, v27, v34
	v_fmac_f32_e32 v35, 0x32a5705f, v22
	v_sub_f32_e32 v28, v28, v36
	v_add_f32_e32 v19, v19, v29
	v_add_f32_e32 v26, v26, v31
	v_cvt_i32_f32_e32 v30, v30
	v_cvt_i32_f32_e32 v32, v32
	v_add_f32_e32 v27, v27, v33
	v_add_f32_e32 v28, v28, v35
	v_exp_f32_e32 v19, v19
	v_exp_f32_e32 v26, v26
	v_cvt_i32_f32_e32 v34, v34
	v_cvt_i32_f32_e32 v36, v36
	v_exp_f32_e32 v27, v27
	v_exp_f32_e32 v28, v28
	v_ldexp_f32 v19, v19, v30
	v_ldexp_f32 v26, v26, v32
	v_cmp_ngt_f32_e32 vcc, s25, v24
	v_cmp_ngt_f32_e64 s[4:5], s25, v25
	v_ldexp_f32 v27, v27, v34
	v_cmp_ngt_f32_e64 s[0:1], s25, v23
	v_ldexp_f32 v28, v28, v36
	v_cmp_ngt_f32_e64 s[2:3], s25, v22
	v_cndmask_b32_e64 v19, 0, v19, s[4:5]
	v_cndmask_b32_e32 v26, 0, v26, vcc
	v_cmp_nlt_f32_e32 vcc, s26, v24
	v_cmp_nlt_f32_e64 s[4:5], s26, v25
	v_cndmask_b32_e64 v24, 0, v27, s[0:1]
	v_cmp_nlt_f32_e64 s[0:1], s26, v23
	v_cndmask_b32_e64 v27, 0, v28, s[2:3]
	;; [unrolled: 2-line block ×3, first 2 shown]
	v_cndmask_b32_e32 v22, v15, v26, vcc
	v_pk_add_f32 v[22:23], v[22:23], 1.0 op_sel_hi:[1,0]
	v_cndmask_b32_e64 v25, v15, v24, s[0:1]
	v_cndmask_b32_e64 v24, v15, v27, s[2:3]
	v_div_scale_f32 v19, s[0:1], v23, v23, v21
	v_pk_add_f32 v[24:25], v[24:25], 1.0 op_sel_hi:[1,0]
	v_div_scale_f32 v27, s[0:1], v22, v22, v20
	v_rcp_f32_e32 v33, v19
	v_div_scale_f32 v29, s[2:3], v25, v25, v11
	v_rcp_f32_e32 v34, v27
	;; [unrolled: 2-line block ×3, first 2 shown]
	v_rcp_f32_e32 v36, v31
	v_fma_f32 v37, -v19, v33, 1.0
	v_div_scale_f32 v26, vcc, v21, v23, v21
	v_fma_f32 v38, -v27, v34, 1.0
	v_fmac_f32_e32 v33, v37, v33
	v_div_scale_f32 v28, s[0:1], v20, v22, v20
	v_fma_f32 v39, -v29, v35, 1.0
	v_fmac_f32_e32 v34, v38, v34
	v_mul_f32_e32 v37, v26, v33
	v_div_scale_f32 v30, s[2:3], v11, v25, v11
	v_fma_f32 v40, -v31, v36, 1.0
	v_fmac_f32_e32 v35, v39, v35
	v_mul_f32_e32 v38, v28, v34
	v_fma_f32 v41, -v19, v37, v26
	v_div_scale_f32 v32, s[4:5], v10, v24, v10
	v_fmac_f32_e32 v36, v40, v36
	v_mul_f32_e32 v39, v30, v35
	v_fma_f32 v42, -v27, v38, v28
	v_fmac_f32_e32 v37, v41, v33
	v_mul_f32_e32 v40, v32, v36
	v_fma_f32 v43, -v29, v39, v30
	v_fmac_f32_e32 v38, v42, v34
	v_fma_f32 v19, -v19, v37, v26
	v_fma_f32 v44, -v31, v40, v32
	v_fmac_f32_e32 v39, v43, v35
	v_fma_f32 v26, -v27, v38, v28
	v_div_fmas_f32 v19, v19, v33, v37
	s_mov_b64 vcc, s[0:1]
	v_fmac_f32_e32 v40, v44, v36
	v_fma_f32 v27, -v29, v39, v30
	v_div_fixup_f32 v19, v19, v23, v21
	v_div_fmas_f32 v21, v26, v34, v38
	s_mov_b64 vcc, s[2:3]
	v_fma_f32 v28, -v31, v40, v32
	v_div_fixup_f32 v20, v21, v22, v20
	v_div_fmas_f32 v21, v27, v35, v39
	v_bfe_u32 v22, v19, 16, 1
	s_mov_b64 vcc, s[4:5]
	v_div_fixup_f32 v11, v21, v25, v11
	v_div_fmas_f32 v21, v28, v36, v40
	v_bfe_u32 v23, v20, 16, 1
	v_add3_u32 v22, v19, v22, s27
	v_div_fixup_f32 v10, v21, v24, v10
	v_bfe_u32 v21, v11, 16, 1
	v_add3_u32 v23, v20, v23, s27
	v_lshrrev_b32_e32 v22, 16, v22
	v_cmp_o_f32_e32 vcc, v19, v19
	v_bfe_u32 v19, v10, 16, 1
	v_add3_u32 v21, v11, v21, s27
	v_lshrrev_b32_e32 v23, 16, v23
	v_cndmask_b32_e32 v22, v16, v22, vcc
	v_cmp_o_f32_e32 vcc, v20, v20
	v_add3_u32 v19, v10, v19, s27
	v_lshrrev_b32_e32 v20, 16, v21
	v_cndmask_b32_e32 v21, v16, v23, vcc
	v_cmp_o_f32_e32 vcc, v11, v11
	v_lshrrev_b32_e32 v19, 16, v19
	v_cndmask_b32_e32 v20, v16, v20, vcc
	v_cmp_o_f32_e32 vcc, v10, v10
	v_cndmask_b32_e32 v10, v16, v19, vcc
	v_perm_b32 v11, v22, v21, s28
	v_perm_b32 v10, v20, v10, s28
	global_store_dwordx2 v[12:13], v[10:11], off
	s_andn2_b64 exec, exec, s[18:19]
	s_cbranch_execnz .LBB85_10
; %bb.11:
	s_or_b64 exec, exec, s[18:19]
	v_mad_u64_u32 v[0:1], s[0:1], v4, s21, v[0:1]
	v_mov_b32_e32 v6, v1
	v_mad_u64_u32 v[6:7], s[0:1], v5, s21, v[6:7]
	v_cmp_ne_u64_e32 vcc, v[2:3], v[4:5]
	s_andn2_b64 s[0:1], s[6:7], exec
	s_and_b64 s[2:3], vcc, exec
	v_mov_b32_e32 v1, v6
	v_pk_mov_b32 v[6:7], s[16:17], s[16:17] op_sel:[0,1]
	s_or_b64 s[6:7], s[0:1], s[2:3]
	s_or_b64 exec, exec, s[14:15]
	s_and_b64 exec, exec, s[6:7]
	s_cbranch_execz .LBB85_14
.LBB85_12:
	v_lshlrev_b64 v[2:3], 1, v[0:1]
	v_add_co_u32_e32 v2, vcc, v2, v6
	s_mov_b32 s7, 0
	v_addc_co_u32_e32 v3, vcc, v3, v7, vcc
	s_lshl_b32 s2, s21, 1
	s_mov_b64 s[0:1], 0
	s_waitcnt lgkmcnt(0)
	v_mov_b32_e32 v4, s11
	s_mov_b32 s3, 0x3fb8aa3b
	s_mov_b32 s4, 0xc2ce8ed0
	s_mov_b32 s5, 0x42b17218
	v_mov_b32_e32 v5, 0x7f800000
	s_movk_i32 s6, 0x7fff
	v_mov_b32_e32 v6, 0x7fc0
	v_mov_b32_e32 v7, s9
	v_mov_b32_e32 v8, s22
	v_mov_b32_e32 v9, s7
.LBB85_13:                              ; =>This Inner Loop Header: Depth=1
	v_add_co_u32_e32 v10, vcc, s10, v2
	v_addc_co_u32_e32 v11, vcc, v4, v3, vcc
	global_load_ushort v12, v[10:11], off
	v_add_co_u32_e32 v10, vcc, s8, v2
	v_addc_co_u32_e32 v11, vcc, v7, v3, vcc
	v_add_co_u32_e32 v0, vcc, s21, v0
	v_addc_co_u32_e32 v1, vcc, v1, v8, vcc
	;; [unrolled: 2-line block ×3, first 2 shown]
	v_cmp_le_i64_e32 vcc, s[12:13], v[0:1]
	s_or_b64 s[0:1], vcc, s[0:1]
	s_waitcnt vmcnt(0)
	v_lshlrev_b32_e32 v12, 16, v12
	v_mul_f32_e32 v13, 0xbfd9db23, v12
	v_mul_f32_e32 v14, 0x3fb8aa3b, v13
	v_fma_f32 v15, v13, s3, -v14
	v_rndne_f32_e32 v16, v14
	v_fmac_f32_e32 v15, 0x32a5705f, v13
	v_sub_f32_e32 v14, v14, v16
	v_add_f32_e32 v14, v14, v15
	v_cvt_i32_f32_e32 v16, v16
	v_exp_f32_e32 v14, v14
	v_cmp_ngt_f32_e32 vcc, s4, v13
	v_ldexp_f32 v14, v14, v16
	v_cndmask_b32_e32 v14, 0, v14, vcc
	v_cmp_nlt_f32_e32 vcc, s5, v13
	v_cndmask_b32_e32 v13, v5, v14, vcc
	v_add_f32_e32 v13, 1.0, v13
	v_div_scale_f32 v14, s[14:15], v13, v13, v12
	v_rcp_f32_e32 v15, v14
	v_div_scale_f32 v16, vcc, v12, v13, v12
	v_fma_f32 v17, -v14, v15, 1.0
	v_fmac_f32_e32 v15, v17, v15
	v_mul_f32_e32 v17, v16, v15
	v_fma_f32 v18, -v14, v17, v16
	v_fmac_f32_e32 v17, v18, v15
	v_fma_f32 v14, -v14, v17, v16
	v_div_fmas_f32 v14, v14, v15, v17
	v_div_fixup_f32 v12, v14, v13, v12
	v_bfe_u32 v13, v12, 16, 1
	v_add3_u32 v13, v12, v13, s6
	v_lshrrev_b32_e32 v13, 16, v13
	v_cmp_o_f32_e32 vcc, v12, v12
	v_cndmask_b32_e32 v12, v6, v13, vcc
	global_store_short v[10:11], v12, off
	s_andn2_b64 exec, exec, s[0:1]
	s_cbranch_execnz .LBB85_13
.LBB85_14:
	s_endpgm
	.section	.rodata,"a",@progbits
	.p2align	6, 0x0
	.amdhsa_kernel _ZN4vllm17activation_kernelIN3c108BFloat16ETnPFT_RKS3_EXadL_ZNS_17gelu_quick_kernelIS2_EES3_S5_EELb0ELb0EEEvPS3_PS4_i
		.amdhsa_group_segment_fixed_size 0
		.amdhsa_private_segment_fixed_size 0
		.amdhsa_kernarg_size 280
		.amdhsa_user_sgpr_count 6
		.amdhsa_user_sgpr_private_segment_buffer 1
		.amdhsa_user_sgpr_dispatch_ptr 0
		.amdhsa_user_sgpr_queue_ptr 0
		.amdhsa_user_sgpr_kernarg_segment_ptr 1
		.amdhsa_user_sgpr_dispatch_id 0
		.amdhsa_user_sgpr_flat_scratch_init 0
		.amdhsa_user_sgpr_kernarg_preload_length 0
		.amdhsa_user_sgpr_kernarg_preload_offset 0
		.amdhsa_user_sgpr_private_segment_size 0
		.amdhsa_uses_dynamic_stack 0
		.amdhsa_system_sgpr_private_segment_wavefront_offset 0
		.amdhsa_system_sgpr_workgroup_id_x 1
		.amdhsa_system_sgpr_workgroup_id_y 0
		.amdhsa_system_sgpr_workgroup_id_z 0
		.amdhsa_system_sgpr_workgroup_info 0
		.amdhsa_system_vgpr_workitem_id 0
		.amdhsa_next_free_vgpr 45
		.amdhsa_next_free_sgpr 29
		.amdhsa_accum_offset 48
		.amdhsa_reserve_vcc 1
		.amdhsa_reserve_flat_scratch 0
		.amdhsa_float_round_mode_32 0
		.amdhsa_float_round_mode_16_64 0
		.amdhsa_float_denorm_mode_32 3
		.amdhsa_float_denorm_mode_16_64 3
		.amdhsa_dx10_clamp 1
		.amdhsa_ieee_mode 1
		.amdhsa_fp16_overflow 0
		.amdhsa_tg_split 0
		.amdhsa_exception_fp_ieee_invalid_op 0
		.amdhsa_exception_fp_denorm_src 0
		.amdhsa_exception_fp_ieee_div_zero 0
		.amdhsa_exception_fp_ieee_overflow 0
		.amdhsa_exception_fp_ieee_underflow 0
		.amdhsa_exception_fp_ieee_inexact 0
		.amdhsa_exception_int_div_zero 0
	.end_amdhsa_kernel
	.section	.text._ZN4vllm17activation_kernelIN3c108BFloat16ETnPFT_RKS3_EXadL_ZNS_17gelu_quick_kernelIS2_EES3_S5_EELb0ELb0EEEvPS3_PS4_i,"axG",@progbits,_ZN4vllm17activation_kernelIN3c108BFloat16ETnPFT_RKS3_EXadL_ZNS_17gelu_quick_kernelIS2_EES3_S5_EELb0ELb0EEEvPS3_PS4_i,comdat
.Lfunc_end85:
	.size	_ZN4vllm17activation_kernelIN3c108BFloat16ETnPFT_RKS3_EXadL_ZNS_17gelu_quick_kernelIS2_EES3_S5_EELb0ELb0EEEvPS3_PS4_i, .Lfunc_end85-_ZN4vllm17activation_kernelIN3c108BFloat16ETnPFT_RKS3_EXadL_ZNS_17gelu_quick_kernelIS2_EES3_S5_EELb0ELb0EEEvPS3_PS4_i
                                        ; -- End function
	.section	.AMDGPU.csdata,"",@progbits
; Kernel info:
; codeLenInByte = 2316
; NumSgprs: 33
; NumVgprs: 45
; NumAgprs: 0
; TotalNumVgprs: 45
; ScratchSize: 0
; MemoryBound: 0
; FloatMode: 240
; IeeeMode: 1
; LDSByteSize: 0 bytes/workgroup (compile time only)
; SGPRBlocks: 4
; VGPRBlocks: 5
; NumSGPRsForWavesPerEU: 33
; NumVGPRsForWavesPerEU: 45
; AccumOffset: 48
; Occupancy: 8
; WaveLimiterHint : 0
; COMPUTE_PGM_RSRC2:SCRATCH_EN: 0
; COMPUTE_PGM_RSRC2:USER_SGPR: 6
; COMPUTE_PGM_RSRC2:TRAP_HANDLER: 0
; COMPUTE_PGM_RSRC2:TGID_X_EN: 1
; COMPUTE_PGM_RSRC2:TGID_Y_EN: 0
; COMPUTE_PGM_RSRC2:TGID_Z_EN: 0
; COMPUTE_PGM_RSRC2:TIDIG_COMP_CNT: 0
; COMPUTE_PGM_RSRC3_GFX90A:ACCUM_OFFSET: 11
; COMPUTE_PGM_RSRC3_GFX90A:TG_SPLIT: 0
	.text
	.p2alignl 6, 3212836864
	.fill 256, 4, 3212836864
	.type	__const.__assert_fail.fmt,@object ; @__const.__assert_fail.fmt
	.section	.rodata.str1.16,"aMS",@progbits,1
	.p2align	4, 0x0
__const.__assert_fail.fmt:
	.asciz	"%s:%u: %s: Device-side assertion `%s' failed.\n"
	.size	__const.__assert_fail.fmt, 47

	.type	.str,@object                    ; @.str
	.section	.rodata.str1.1,"aMS",@progbits,1
.str:
	.asciz	"false && \"ld256 requires SM100+ with CUDA 12.9+\""
	.size	.str, 49

	.type	.str.1,@object                  ; @.str.1
.str.1:
	.asciz	"/root/src/amdgpu-assembly/repos/vllm-project__vllm/csrc/libtorch_stable/hip_vec_utils.cuh"
	.size	.str.1, 90

	.type	__PRETTY_FUNCTION__._ZN4vllm5ld256ERNS_7u32x8_tEPKS0_,@object ; @__PRETTY_FUNCTION__._ZN4vllm5ld256ERNS_7u32x8_tEPKS0_
__PRETTY_FUNCTION__._ZN4vllm5ld256ERNS_7u32x8_tEPKS0_:
	.asciz	"void vllm::ld256(u32x8_t &, const u32x8_t *)"
	.size	__PRETTY_FUNCTION__._ZN4vllm5ld256ERNS_7u32x8_tEPKS0_, 45

	.type	__hip_cuid_7dbfc8835e97e67f,@object ; @__hip_cuid_7dbfc8835e97e67f
	.section	.bss,"aw",@nobits
	.globl	__hip_cuid_7dbfc8835e97e67f
__hip_cuid_7dbfc8835e97e67f:
	.byte	0                               ; 0x0
	.size	__hip_cuid_7dbfc8835e97e67f, 1

	.ident	"AMD clang version 19.0.0git (https://github.com/RadeonOpenCompute/llvm-project roc-6.4.0 25133 c7fe45cf4b819c5991fe208aaa96edf142730f1d)"
	.section	".note.GNU-stack","",@progbits
	.addrsig
	.addrsig_sym __hip_cuid_7dbfc8835e97e67f
	.amdgpu_metadata
---
amdhsa.kernels:
  - .agpr_count:     0
    .args:
      - .actual_access:  read_only
        .address_space:  global
        .offset:         0
        .size:           8
        .value_kind:     global_buffer
      - .actual_access:  read_only
        .address_space:  global
        .offset:         8
        .size:           8
        .value_kind:     global_buffer
      - .offset:         16
        .size:           4
        .value_kind:     by_value
      - .offset:         20
        .size:           4
        .value_kind:     by_value
      - .offset:         24
        .size:           4
        .value_kind:     hidden_block_count_x
      - .offset:         28
        .size:           4
        .value_kind:     hidden_block_count_y
      - .offset:         32
        .size:           4
        .value_kind:     hidden_block_count_z
      - .offset:         36
        .size:           2
        .value_kind:     hidden_group_size_x
      - .offset:         38
        .size:           2
        .value_kind:     hidden_group_size_y
      - .offset:         40
        .size:           2
        .value_kind:     hidden_group_size_z
      - .offset:         42
        .size:           2
        .value_kind:     hidden_remainder_x
      - .offset:         44
        .size:           2
        .value_kind:     hidden_remainder_y
      - .offset:         46
        .size:           2
        .value_kind:     hidden_remainder_z
      - .offset:         64
        .size:           8
        .value_kind:     hidden_global_offset_x
      - .offset:         72
        .size:           8
        .value_kind:     hidden_global_offset_y
      - .offset:         80
        .size:           8
        .value_kind:     hidden_global_offset_z
      - .offset:         88
        .size:           2
        .value_kind:     hidden_grid_dims
      - .offset:         104
        .size:           8
        .value_kind:     hidden_hostcall_buffer
    .group_segment_fixed_size: 0
    .kernarg_segment_align: 8
    .kernarg_segment_size: 280
    .language:       OpenCL C
    .language_version:
      - 2
      - 0
    .max_flat_workgroup_size: 1024
    .name:           _ZN4vllm18act_and_mul_kernelIf15HIP_vector_typeIfLj2EETnPFT_RKS3_EXadL_ZNS_11silu_kernelIfEES3_S5_EETnPFT0_RKS9_EXadL_ZNS_18packed_silu_kernelIS2_EES3_S5_EELb1ELb1ELb0ELb1EEEvPS3_PS4_if
    .private_segment_fixed_size: 64
    .sgpr_count:     40
    .sgpr_spill_count: 0
    .symbol:         _ZN4vllm18act_and_mul_kernelIf15HIP_vector_typeIfLj2EETnPFT_RKS3_EXadL_ZNS_11silu_kernelIfEES3_S5_EETnPFT0_RKS9_EXadL_ZNS_18packed_silu_kernelIS2_EES3_S5_EELb1ELb1ELb0ELb1EEEvPS3_PS4_if.kd
    .uniform_work_group_size: 1
    .uses_dynamic_stack: false
    .vgpr_count:     51
    .vgpr_spill_count: 0
    .wavefront_size: 64
  - .agpr_count:     0
    .args:
      - .actual_access:  read_only
        .address_space:  global
        .offset:         0
        .size:           8
        .value_kind:     global_buffer
      - .actual_access:  read_only
        .address_space:  global
        .offset:         8
        .size:           8
        .value_kind:     global_buffer
      - .offset:         16
        .size:           4
        .value_kind:     by_value
      - .offset:         20
        .size:           4
        .value_kind:     by_value
      - .offset:         24
        .size:           4
        .value_kind:     hidden_block_count_x
      - .offset:         28
        .size:           4
        .value_kind:     hidden_block_count_y
      - .offset:         32
        .size:           4
        .value_kind:     hidden_block_count_z
      - .offset:         36
        .size:           2
        .value_kind:     hidden_group_size_x
      - .offset:         38
        .size:           2
        .value_kind:     hidden_group_size_y
      - .offset:         40
        .size:           2
        .value_kind:     hidden_group_size_z
      - .offset:         42
        .size:           2
        .value_kind:     hidden_remainder_x
      - .offset:         44
        .size:           2
        .value_kind:     hidden_remainder_y
      - .offset:         46
        .size:           2
        .value_kind:     hidden_remainder_z
      - .offset:         64
        .size:           8
        .value_kind:     hidden_global_offset_x
      - .offset:         72
        .size:           8
        .value_kind:     hidden_global_offset_y
      - .offset:         80
        .size:           8
        .value_kind:     hidden_global_offset_z
      - .offset:         88
        .size:           2
        .value_kind:     hidden_grid_dims
      - .offset:         104
        .size:           8
        .value_kind:     hidden_hostcall_buffer
    .group_segment_fixed_size: 0
    .kernarg_segment_align: 8
    .kernarg_segment_size: 280
    .language:       OpenCL C
    .language_version:
      - 2
      - 0
    .max_flat_workgroup_size: 1024
    .name:           _ZN4vllm18act_and_mul_kernelIN3c104HalfE7__half2TnPFT_RKS4_EXadL_ZNS_11silu_kernelIS2_EES4_S6_EETnPFT0_RKSA_EXadL_ZNS_18packed_silu_kernelIS3_EES4_S6_EELb1ELb1ELb0ELb1EEEvPS4_PS5_if
    .private_segment_fixed_size: 64
    .sgpr_count:     40
    .sgpr_spill_count: 0
    .symbol:         _ZN4vllm18act_and_mul_kernelIN3c104HalfE7__half2TnPFT_RKS4_EXadL_ZNS_11silu_kernelIS2_EES4_S6_EETnPFT0_RKSA_EXadL_ZNS_18packed_silu_kernelIS3_EES4_S6_EELb1ELb1ELb0ELb1EEEvPS4_PS5_if.kd
    .uniform_work_group_size: 1
    .uses_dynamic_stack: false
    .vgpr_count:     51
    .vgpr_spill_count: 0
    .wavefront_size: 64
  - .agpr_count:     0
    .args:
      - .actual_access:  read_only
        .address_space:  global
        .offset:         0
        .size:           8
        .value_kind:     global_buffer
      - .actual_access:  read_only
        .address_space:  global
        .offset:         8
        .size:           8
        .value_kind:     global_buffer
      - .offset:         16
        .size:           4
        .value_kind:     by_value
      - .offset:         20
        .size:           4
        .value_kind:     by_value
      - .offset:         24
        .size:           4
        .value_kind:     hidden_block_count_x
      - .offset:         28
        .size:           4
        .value_kind:     hidden_block_count_y
      - .offset:         32
        .size:           4
        .value_kind:     hidden_block_count_z
      - .offset:         36
        .size:           2
        .value_kind:     hidden_group_size_x
      - .offset:         38
        .size:           2
        .value_kind:     hidden_group_size_y
      - .offset:         40
        .size:           2
        .value_kind:     hidden_group_size_z
      - .offset:         42
        .size:           2
        .value_kind:     hidden_remainder_x
      - .offset:         44
        .size:           2
        .value_kind:     hidden_remainder_y
      - .offset:         46
        .size:           2
        .value_kind:     hidden_remainder_z
      - .offset:         64
        .size:           8
        .value_kind:     hidden_global_offset_x
      - .offset:         72
        .size:           8
        .value_kind:     hidden_global_offset_y
      - .offset:         80
        .size:           8
        .value_kind:     hidden_global_offset_z
      - .offset:         88
        .size:           2
        .value_kind:     hidden_grid_dims
      - .offset:         104
        .size:           8
        .value_kind:     hidden_hostcall_buffer
    .group_segment_fixed_size: 0
    .kernarg_segment_align: 8
    .kernarg_segment_size: 280
    .language:       OpenCL C
    .language_version:
      - 2
      - 0
    .max_flat_workgroup_size: 1024
    .name:           _ZN4vllm18act_and_mul_kernelIN3c108BFloat16E15__hip_bfloat162TnPFT_RKS4_EXadL_ZNS_11silu_kernelIS2_EES4_S6_EETnPFT0_RKSA_EXadL_ZNS_18packed_silu_kernelIS3_EES4_S6_EELb1ELb1ELb0ELb1EEEvPS4_PS5_if
    .private_segment_fixed_size: 64
    .sgpr_count:     40
    .sgpr_spill_count: 0
    .symbol:         _ZN4vllm18act_and_mul_kernelIN3c108BFloat16E15__hip_bfloat162TnPFT_RKS4_EXadL_ZNS_11silu_kernelIS2_EES4_S6_EETnPFT0_RKSA_EXadL_ZNS_18packed_silu_kernelIS3_EES4_S6_EELb1ELb1ELb0ELb1EEEvPS4_PS5_if.kd
    .uniform_work_group_size: 1
    .uses_dynamic_stack: false
    .vgpr_count:     51
    .vgpr_spill_count: 0
    .wavefront_size: 64
  - .agpr_count:     0
    .args:
      - .actual_access:  write_only
        .address_space:  global
        .offset:         0
        .size:           8
        .value_kind:     global_buffer
      - .actual_access:  read_only
        .address_space:  global
        .offset:         8
        .size:           8
        .value_kind:     global_buffer
      - .offset:         16
        .size:           4
        .value_kind:     by_value
      - .offset:         20
        .size:           4
        .value_kind:     by_value
      - .offset:         24
        .size:           4
        .value_kind:     hidden_block_count_x
      - .offset:         28
        .size:           4
        .value_kind:     hidden_block_count_y
      - .offset:         32
        .size:           4
        .value_kind:     hidden_block_count_z
      - .offset:         36
        .size:           2
        .value_kind:     hidden_group_size_x
      - .offset:         38
        .size:           2
        .value_kind:     hidden_group_size_y
      - .offset:         40
        .size:           2
        .value_kind:     hidden_group_size_z
      - .offset:         42
        .size:           2
        .value_kind:     hidden_remainder_x
      - .offset:         44
        .size:           2
        .value_kind:     hidden_remainder_y
      - .offset:         46
        .size:           2
        .value_kind:     hidden_remainder_z
      - .offset:         64
        .size:           8
        .value_kind:     hidden_global_offset_x
      - .offset:         72
        .size:           8
        .value_kind:     hidden_global_offset_y
      - .offset:         80
        .size:           8
        .value_kind:     hidden_global_offset_z
      - .offset:         88
        .size:           2
        .value_kind:     hidden_grid_dims
    .group_segment_fixed_size: 0
    .kernarg_segment_align: 8
    .kernarg_segment_size: 280
    .language:       OpenCL C
    .language_version:
      - 2
      - 0
    .max_flat_workgroup_size: 1024
    .name:           _ZN4vllm18act_and_mul_kernelIf15HIP_vector_typeIfLj2EETnPFT_RKS3_EXadL_ZNS_11silu_kernelIfEES3_S5_EETnPFT0_RKS9_EXadL_ZNS_18packed_silu_kernelIS2_EES3_S5_EELb1ELb1ELb0ELb0EEEvPS3_PS4_if
    .private_segment_fixed_size: 0
    .sgpr_count:     24
    .sgpr_spill_count: 0
    .symbol:         _ZN4vllm18act_and_mul_kernelIf15HIP_vector_typeIfLj2EETnPFT_RKS3_EXadL_ZNS_11silu_kernelIfEES3_S5_EETnPFT0_RKS9_EXadL_ZNS_18packed_silu_kernelIS2_EES3_S5_EELb1ELb1ELb0ELb0EEEvPS3_PS4_if.kd
    .uniform_work_group_size: 1
    .uses_dynamic_stack: false
    .vgpr_count:     42
    .vgpr_spill_count: 0
    .wavefront_size: 64
  - .agpr_count:     0
    .args:
      - .actual_access:  write_only
        .address_space:  global
        .offset:         0
        .size:           8
        .value_kind:     global_buffer
      - .actual_access:  read_only
        .address_space:  global
        .offset:         8
        .size:           8
        .value_kind:     global_buffer
      - .offset:         16
        .size:           4
        .value_kind:     by_value
      - .offset:         20
        .size:           4
        .value_kind:     by_value
      - .offset:         24
        .size:           4
        .value_kind:     hidden_block_count_x
      - .offset:         28
        .size:           4
        .value_kind:     hidden_block_count_y
      - .offset:         32
        .size:           4
        .value_kind:     hidden_block_count_z
      - .offset:         36
        .size:           2
        .value_kind:     hidden_group_size_x
      - .offset:         38
        .size:           2
        .value_kind:     hidden_group_size_y
      - .offset:         40
        .size:           2
        .value_kind:     hidden_group_size_z
      - .offset:         42
        .size:           2
        .value_kind:     hidden_remainder_x
      - .offset:         44
        .size:           2
        .value_kind:     hidden_remainder_y
      - .offset:         46
        .size:           2
        .value_kind:     hidden_remainder_z
      - .offset:         64
        .size:           8
        .value_kind:     hidden_global_offset_x
      - .offset:         72
        .size:           8
        .value_kind:     hidden_global_offset_y
      - .offset:         80
        .size:           8
        .value_kind:     hidden_global_offset_z
      - .offset:         88
        .size:           2
        .value_kind:     hidden_grid_dims
    .group_segment_fixed_size: 0
    .kernarg_segment_align: 8
    .kernarg_segment_size: 280
    .language:       OpenCL C
    .language_version:
      - 2
      - 0
    .max_flat_workgroup_size: 1024
    .name:           _ZN4vllm18act_and_mul_kernelIN3c104HalfE7__half2TnPFT_RKS4_EXadL_ZNS_11silu_kernelIS2_EES4_S6_EETnPFT0_RKSA_EXadL_ZNS_18packed_silu_kernelIS3_EES4_S6_EELb1ELb1ELb0ELb0EEEvPS4_PS5_if
    .private_segment_fixed_size: 0
    .sgpr_count:     31
    .sgpr_spill_count: 0
    .symbol:         _ZN4vllm18act_and_mul_kernelIN3c104HalfE7__half2TnPFT_RKS4_EXadL_ZNS_11silu_kernelIS2_EES4_S6_EETnPFT0_RKSA_EXadL_ZNS_18packed_silu_kernelIS3_EES4_S6_EELb1ELb1ELb0ELb0EEEvPS4_PS5_if.kd
    .uniform_work_group_size: 1
    .uses_dynamic_stack: false
    .vgpr_count:     63
    .vgpr_spill_count: 0
    .wavefront_size: 64
  - .agpr_count:     0
    .args:
      - .actual_access:  write_only
        .address_space:  global
        .offset:         0
        .size:           8
        .value_kind:     global_buffer
      - .actual_access:  read_only
        .address_space:  global
        .offset:         8
        .size:           8
        .value_kind:     global_buffer
      - .offset:         16
        .size:           4
        .value_kind:     by_value
      - .offset:         20
        .size:           4
        .value_kind:     by_value
      - .offset:         24
        .size:           4
        .value_kind:     hidden_block_count_x
      - .offset:         28
        .size:           4
        .value_kind:     hidden_block_count_y
      - .offset:         32
        .size:           4
        .value_kind:     hidden_block_count_z
      - .offset:         36
        .size:           2
        .value_kind:     hidden_group_size_x
      - .offset:         38
        .size:           2
        .value_kind:     hidden_group_size_y
      - .offset:         40
        .size:           2
        .value_kind:     hidden_group_size_z
      - .offset:         42
        .size:           2
        .value_kind:     hidden_remainder_x
      - .offset:         44
        .size:           2
        .value_kind:     hidden_remainder_y
      - .offset:         46
        .size:           2
        .value_kind:     hidden_remainder_z
      - .offset:         64
        .size:           8
        .value_kind:     hidden_global_offset_x
      - .offset:         72
        .size:           8
        .value_kind:     hidden_global_offset_y
      - .offset:         80
        .size:           8
        .value_kind:     hidden_global_offset_z
      - .offset:         88
        .size:           2
        .value_kind:     hidden_grid_dims
    .group_segment_fixed_size: 0
    .kernarg_segment_align: 8
    .kernarg_segment_size: 280
    .language:       OpenCL C
    .language_version:
      - 2
      - 0
    .max_flat_workgroup_size: 1024
    .name:           _ZN4vllm18act_and_mul_kernelIN3c108BFloat16E15__hip_bfloat162TnPFT_RKS4_EXadL_ZNS_11silu_kernelIS2_EES4_S6_EETnPFT0_RKSA_EXadL_ZNS_18packed_silu_kernelIS3_EES4_S6_EELb1ELb1ELb0ELb0EEEvPS4_PS5_if
    .private_segment_fixed_size: 0
    .sgpr_count:     20
    .sgpr_spill_count: 0
    .symbol:         _ZN4vllm18act_and_mul_kernelIN3c108BFloat16E15__hip_bfloat162TnPFT_RKS4_EXadL_ZNS_11silu_kernelIS2_EES4_S6_EETnPFT0_RKSA_EXadL_ZNS_18packed_silu_kernelIS3_EES4_S6_EELb1ELb1ELb0ELb0EEEvPS4_PS5_if.kd
    .uniform_work_group_size: 1
    .uses_dynamic_stack: false
    .vgpr_count:     24
    .vgpr_spill_count: 0
    .wavefront_size: 64
  - .agpr_count:     0
    .args:
      - .actual_access:  write_only
        .address_space:  global
        .offset:         0
        .size:           8
        .value_kind:     global_buffer
      - .actual_access:  read_only
        .address_space:  global
        .offset:         8
        .size:           8
        .value_kind:     global_buffer
      - .offset:         16
        .size:           4
        .value_kind:     by_value
      - .offset:         20
        .size:           4
        .value_kind:     by_value
      - .offset:         24
        .size:           4
        .value_kind:     hidden_block_count_x
      - .offset:         28
        .size:           4
        .value_kind:     hidden_block_count_y
      - .offset:         32
        .size:           4
        .value_kind:     hidden_block_count_z
      - .offset:         36
        .size:           2
        .value_kind:     hidden_group_size_x
      - .offset:         38
        .size:           2
        .value_kind:     hidden_group_size_y
      - .offset:         40
        .size:           2
        .value_kind:     hidden_group_size_z
      - .offset:         42
        .size:           2
        .value_kind:     hidden_remainder_x
      - .offset:         44
        .size:           2
        .value_kind:     hidden_remainder_y
      - .offset:         46
        .size:           2
        .value_kind:     hidden_remainder_z
      - .offset:         64
        .size:           8
        .value_kind:     hidden_global_offset_x
      - .offset:         72
        .size:           8
        .value_kind:     hidden_global_offset_y
      - .offset:         80
        .size:           8
        .value_kind:     hidden_global_offset_z
      - .offset:         88
        .size:           2
        .value_kind:     hidden_grid_dims
    .group_segment_fixed_size: 0
    .kernarg_segment_align: 8
    .kernarg_segment_size: 280
    .language:       OpenCL C
    .language_version:
      - 2
      - 0
    .max_flat_workgroup_size: 1024
    .name:           _ZN4vllm18act_and_mul_kernelIf15HIP_vector_typeIfLj2EETnPFT_RKS3_EXadL_ZNS_11silu_kernelIfEES3_S5_EETnPFT0_RKS9_EXadL_ZNS_18packed_silu_kernelIS2_EES3_S5_EELb1ELb0ELb0ELb0EEEvPS3_PS4_if
    .private_segment_fixed_size: 0
    .sgpr_count:     28
    .sgpr_spill_count: 0
    .symbol:         _ZN4vllm18act_and_mul_kernelIf15HIP_vector_typeIfLj2EETnPFT_RKS3_EXadL_ZNS_11silu_kernelIfEES3_S5_EETnPFT0_RKS9_EXadL_ZNS_18packed_silu_kernelIS2_EES3_S5_EELb1ELb0ELb0ELb0EEEvPS3_PS4_if.kd
    .uniform_work_group_size: 1
    .uses_dynamic_stack: false
    .vgpr_count:     33
    .vgpr_spill_count: 0
    .wavefront_size: 64
  - .agpr_count:     0
    .args:
      - .actual_access:  write_only
        .address_space:  global
        .offset:         0
        .size:           8
        .value_kind:     global_buffer
      - .actual_access:  read_only
        .address_space:  global
        .offset:         8
        .size:           8
        .value_kind:     global_buffer
      - .offset:         16
        .size:           4
        .value_kind:     by_value
      - .offset:         20
        .size:           4
        .value_kind:     by_value
      - .offset:         24
        .size:           4
        .value_kind:     hidden_block_count_x
      - .offset:         28
        .size:           4
        .value_kind:     hidden_block_count_y
      - .offset:         32
        .size:           4
        .value_kind:     hidden_block_count_z
      - .offset:         36
        .size:           2
        .value_kind:     hidden_group_size_x
      - .offset:         38
        .size:           2
        .value_kind:     hidden_group_size_y
      - .offset:         40
        .size:           2
        .value_kind:     hidden_group_size_z
      - .offset:         42
        .size:           2
        .value_kind:     hidden_remainder_x
      - .offset:         44
        .size:           2
        .value_kind:     hidden_remainder_y
      - .offset:         46
        .size:           2
        .value_kind:     hidden_remainder_z
      - .offset:         64
        .size:           8
        .value_kind:     hidden_global_offset_x
      - .offset:         72
        .size:           8
        .value_kind:     hidden_global_offset_y
      - .offset:         80
        .size:           8
        .value_kind:     hidden_global_offset_z
      - .offset:         88
        .size:           2
        .value_kind:     hidden_grid_dims
    .group_segment_fixed_size: 0
    .kernarg_segment_align: 8
    .kernarg_segment_size: 280
    .language:       OpenCL C
    .language_version:
      - 2
      - 0
    .max_flat_workgroup_size: 1024
    .name:           _ZN4vllm18act_and_mul_kernelIN3c104HalfE7__half2TnPFT_RKS4_EXadL_ZNS_11silu_kernelIS2_EES4_S6_EETnPFT0_RKSA_EXadL_ZNS_18packed_silu_kernelIS3_EES4_S6_EELb1ELb0ELb0ELb0EEEvPS4_PS5_if
    .private_segment_fixed_size: 0
    .sgpr_count:     35
    .sgpr_spill_count: 0
    .symbol:         _ZN4vllm18act_and_mul_kernelIN3c104HalfE7__half2TnPFT_RKS4_EXadL_ZNS_11silu_kernelIS2_EES4_S6_EETnPFT0_RKSA_EXadL_ZNS_18packed_silu_kernelIS3_EES4_S6_EELb1ELb0ELb0ELb0EEEvPS4_PS5_if.kd
    .uniform_work_group_size: 1
    .uses_dynamic_stack: false
    .vgpr_count:     47
    .vgpr_spill_count: 0
    .wavefront_size: 64
  - .agpr_count:     0
    .args:
      - .actual_access:  write_only
        .address_space:  global
        .offset:         0
        .size:           8
        .value_kind:     global_buffer
      - .actual_access:  read_only
        .address_space:  global
        .offset:         8
        .size:           8
        .value_kind:     global_buffer
      - .offset:         16
        .size:           4
        .value_kind:     by_value
      - .offset:         20
        .size:           4
        .value_kind:     by_value
      - .offset:         24
        .size:           4
        .value_kind:     hidden_block_count_x
      - .offset:         28
        .size:           4
        .value_kind:     hidden_block_count_y
      - .offset:         32
        .size:           4
        .value_kind:     hidden_block_count_z
      - .offset:         36
        .size:           2
        .value_kind:     hidden_group_size_x
      - .offset:         38
        .size:           2
        .value_kind:     hidden_group_size_y
      - .offset:         40
        .size:           2
        .value_kind:     hidden_group_size_z
      - .offset:         42
        .size:           2
        .value_kind:     hidden_remainder_x
      - .offset:         44
        .size:           2
        .value_kind:     hidden_remainder_y
      - .offset:         46
        .size:           2
        .value_kind:     hidden_remainder_z
      - .offset:         64
        .size:           8
        .value_kind:     hidden_global_offset_x
      - .offset:         72
        .size:           8
        .value_kind:     hidden_global_offset_y
      - .offset:         80
        .size:           8
        .value_kind:     hidden_global_offset_z
      - .offset:         88
        .size:           2
        .value_kind:     hidden_grid_dims
    .group_segment_fixed_size: 0
    .kernarg_segment_align: 8
    .kernarg_segment_size: 280
    .language:       OpenCL C
    .language_version:
      - 2
      - 0
    .max_flat_workgroup_size: 1024
    .name:           _ZN4vllm18act_and_mul_kernelIN3c108BFloat16E15__hip_bfloat162TnPFT_RKS4_EXadL_ZNS_11silu_kernelIS2_EES4_S6_EETnPFT0_RKSA_EXadL_ZNS_18packed_silu_kernelIS3_EES4_S6_EELb1ELb0ELb0ELb0EEEvPS4_PS5_if
    .private_segment_fixed_size: 0
    .sgpr_count:     34
    .sgpr_spill_count: 0
    .symbol:         _ZN4vllm18act_and_mul_kernelIN3c108BFloat16E15__hip_bfloat162TnPFT_RKS4_EXadL_ZNS_11silu_kernelIS2_EES4_S6_EETnPFT0_RKSA_EXadL_ZNS_18packed_silu_kernelIS3_EES4_S6_EELb1ELb0ELb0ELb0EEEvPS4_PS5_if.kd
    .uniform_work_group_size: 1
    .uses_dynamic_stack: false
    .vgpr_count:     51
    .vgpr_spill_count: 0
    .wavefront_size: 64
  - .agpr_count:     0
    .args:
      - .actual_access:  read_only
        .address_space:  global
        .offset:         0
        .size:           8
        .value_kind:     global_buffer
      - .actual_access:  read_only
        .address_space:  global
        .offset:         8
        .size:           8
        .value_kind:     global_buffer
      - .offset:         16
        .size:           4
        .value_kind:     by_value
      - .offset:         20
        .size:           4
        .value_kind:     by_value
      - .offset:         24
        .size:           4
        .value_kind:     hidden_block_count_x
      - .offset:         28
        .size:           4
        .value_kind:     hidden_block_count_y
      - .offset:         32
        .size:           4
        .value_kind:     hidden_block_count_z
      - .offset:         36
        .size:           2
        .value_kind:     hidden_group_size_x
      - .offset:         38
        .size:           2
        .value_kind:     hidden_group_size_y
      - .offset:         40
        .size:           2
        .value_kind:     hidden_group_size_z
      - .offset:         42
        .size:           2
        .value_kind:     hidden_remainder_x
      - .offset:         44
        .size:           2
        .value_kind:     hidden_remainder_y
      - .offset:         46
        .size:           2
        .value_kind:     hidden_remainder_z
      - .offset:         64
        .size:           8
        .value_kind:     hidden_global_offset_x
      - .offset:         72
        .size:           8
        .value_kind:     hidden_global_offset_y
      - .offset:         80
        .size:           8
        .value_kind:     hidden_global_offset_z
      - .offset:         88
        .size:           2
        .value_kind:     hidden_grid_dims
      - .offset:         104
        .size:           8
        .value_kind:     hidden_hostcall_buffer
    .group_segment_fixed_size: 0
    .kernarg_segment_align: 8
    .kernarg_segment_size: 280
    .language:       OpenCL C
    .language_version:
      - 2
      - 0
    .max_flat_workgroup_size: 1024
    .name:           _ZN4vllm18act_and_mul_kernelIf15HIP_vector_typeIfLj2EETnPFT_RKS3_EXadL_ZNS_11silu_kernelIfEES3_S5_EETnPFT0_RKS9_EXadL_ZNS_18packed_silu_kernelIS2_EES3_S5_EELb1ELb1ELb1ELb1EEEvPS3_PS4_if
    .private_segment_fixed_size: 64
    .sgpr_count:     40
    .sgpr_spill_count: 0
    .symbol:         _ZN4vllm18act_and_mul_kernelIf15HIP_vector_typeIfLj2EETnPFT_RKS3_EXadL_ZNS_11silu_kernelIfEES3_S5_EETnPFT0_RKS9_EXadL_ZNS_18packed_silu_kernelIS2_EES3_S5_EELb1ELb1ELb1ELb1EEEvPS3_PS4_if.kd
    .uniform_work_group_size: 1
    .uses_dynamic_stack: false
    .vgpr_count:     51
    .vgpr_spill_count: 0
    .wavefront_size: 64
  - .agpr_count:     0
    .args:
      - .actual_access:  read_only
        .address_space:  global
        .offset:         0
        .size:           8
        .value_kind:     global_buffer
      - .actual_access:  read_only
        .address_space:  global
        .offset:         8
        .size:           8
        .value_kind:     global_buffer
      - .offset:         16
        .size:           4
        .value_kind:     by_value
      - .offset:         20
        .size:           4
        .value_kind:     by_value
      - .offset:         24
        .size:           4
        .value_kind:     hidden_block_count_x
      - .offset:         28
        .size:           4
        .value_kind:     hidden_block_count_y
      - .offset:         32
        .size:           4
        .value_kind:     hidden_block_count_z
      - .offset:         36
        .size:           2
        .value_kind:     hidden_group_size_x
      - .offset:         38
        .size:           2
        .value_kind:     hidden_group_size_y
      - .offset:         40
        .size:           2
        .value_kind:     hidden_group_size_z
      - .offset:         42
        .size:           2
        .value_kind:     hidden_remainder_x
      - .offset:         44
        .size:           2
        .value_kind:     hidden_remainder_y
      - .offset:         46
        .size:           2
        .value_kind:     hidden_remainder_z
      - .offset:         64
        .size:           8
        .value_kind:     hidden_global_offset_x
      - .offset:         72
        .size:           8
        .value_kind:     hidden_global_offset_y
      - .offset:         80
        .size:           8
        .value_kind:     hidden_global_offset_z
      - .offset:         88
        .size:           2
        .value_kind:     hidden_grid_dims
      - .offset:         104
        .size:           8
        .value_kind:     hidden_hostcall_buffer
    .group_segment_fixed_size: 0
    .kernarg_segment_align: 8
    .kernarg_segment_size: 280
    .language:       OpenCL C
    .language_version:
      - 2
      - 0
    .max_flat_workgroup_size: 1024
    .name:           _ZN4vllm18act_and_mul_kernelIN3c104HalfE7__half2TnPFT_RKS4_EXadL_ZNS_11silu_kernelIS2_EES4_S6_EETnPFT0_RKSA_EXadL_ZNS_18packed_silu_kernelIS3_EES4_S6_EELb1ELb1ELb1ELb1EEEvPS4_PS5_if
    .private_segment_fixed_size: 64
    .sgpr_count:     40
    .sgpr_spill_count: 0
    .symbol:         _ZN4vllm18act_and_mul_kernelIN3c104HalfE7__half2TnPFT_RKS4_EXadL_ZNS_11silu_kernelIS2_EES4_S6_EETnPFT0_RKSA_EXadL_ZNS_18packed_silu_kernelIS3_EES4_S6_EELb1ELb1ELb1ELb1EEEvPS4_PS5_if.kd
    .uniform_work_group_size: 1
    .uses_dynamic_stack: false
    .vgpr_count:     51
    .vgpr_spill_count: 0
    .wavefront_size: 64
  - .agpr_count:     0
    .args:
      - .actual_access:  read_only
        .address_space:  global
        .offset:         0
        .size:           8
        .value_kind:     global_buffer
      - .actual_access:  read_only
        .address_space:  global
        .offset:         8
        .size:           8
        .value_kind:     global_buffer
      - .offset:         16
        .size:           4
        .value_kind:     by_value
      - .offset:         20
        .size:           4
        .value_kind:     by_value
      - .offset:         24
        .size:           4
        .value_kind:     hidden_block_count_x
      - .offset:         28
        .size:           4
        .value_kind:     hidden_block_count_y
      - .offset:         32
        .size:           4
        .value_kind:     hidden_block_count_z
      - .offset:         36
        .size:           2
        .value_kind:     hidden_group_size_x
      - .offset:         38
        .size:           2
        .value_kind:     hidden_group_size_y
      - .offset:         40
        .size:           2
        .value_kind:     hidden_group_size_z
      - .offset:         42
        .size:           2
        .value_kind:     hidden_remainder_x
      - .offset:         44
        .size:           2
        .value_kind:     hidden_remainder_y
      - .offset:         46
        .size:           2
        .value_kind:     hidden_remainder_z
      - .offset:         64
        .size:           8
        .value_kind:     hidden_global_offset_x
      - .offset:         72
        .size:           8
        .value_kind:     hidden_global_offset_y
      - .offset:         80
        .size:           8
        .value_kind:     hidden_global_offset_z
      - .offset:         88
        .size:           2
        .value_kind:     hidden_grid_dims
      - .offset:         104
        .size:           8
        .value_kind:     hidden_hostcall_buffer
    .group_segment_fixed_size: 0
    .kernarg_segment_align: 8
    .kernarg_segment_size: 280
    .language:       OpenCL C
    .language_version:
      - 2
      - 0
    .max_flat_workgroup_size: 1024
    .name:           _ZN4vllm18act_and_mul_kernelIN3c108BFloat16E15__hip_bfloat162TnPFT_RKS4_EXadL_ZNS_11silu_kernelIS2_EES4_S6_EETnPFT0_RKSA_EXadL_ZNS_18packed_silu_kernelIS3_EES4_S6_EELb1ELb1ELb1ELb1EEEvPS4_PS5_if
    .private_segment_fixed_size: 64
    .sgpr_count:     40
    .sgpr_spill_count: 0
    .symbol:         _ZN4vllm18act_and_mul_kernelIN3c108BFloat16E15__hip_bfloat162TnPFT_RKS4_EXadL_ZNS_11silu_kernelIS2_EES4_S6_EETnPFT0_RKSA_EXadL_ZNS_18packed_silu_kernelIS3_EES4_S6_EELb1ELb1ELb1ELb1EEEvPS4_PS5_if.kd
    .uniform_work_group_size: 1
    .uses_dynamic_stack: false
    .vgpr_count:     51
    .vgpr_spill_count: 0
    .wavefront_size: 64
  - .agpr_count:     0
    .args:
      - .actual_access:  write_only
        .address_space:  global
        .offset:         0
        .size:           8
        .value_kind:     global_buffer
      - .actual_access:  read_only
        .address_space:  global
        .offset:         8
        .size:           8
        .value_kind:     global_buffer
      - .offset:         16
        .size:           4
        .value_kind:     by_value
      - .offset:         20
        .size:           4
        .value_kind:     by_value
      - .offset:         24
        .size:           4
        .value_kind:     hidden_block_count_x
      - .offset:         28
        .size:           4
        .value_kind:     hidden_block_count_y
      - .offset:         32
        .size:           4
        .value_kind:     hidden_block_count_z
      - .offset:         36
        .size:           2
        .value_kind:     hidden_group_size_x
      - .offset:         38
        .size:           2
        .value_kind:     hidden_group_size_y
      - .offset:         40
        .size:           2
        .value_kind:     hidden_group_size_z
      - .offset:         42
        .size:           2
        .value_kind:     hidden_remainder_x
      - .offset:         44
        .size:           2
        .value_kind:     hidden_remainder_y
      - .offset:         46
        .size:           2
        .value_kind:     hidden_remainder_z
      - .offset:         64
        .size:           8
        .value_kind:     hidden_global_offset_x
      - .offset:         72
        .size:           8
        .value_kind:     hidden_global_offset_y
      - .offset:         80
        .size:           8
        .value_kind:     hidden_global_offset_z
      - .offset:         88
        .size:           2
        .value_kind:     hidden_grid_dims
    .group_segment_fixed_size: 0
    .kernarg_segment_align: 8
    .kernarg_segment_size: 280
    .language:       OpenCL C
    .language_version:
      - 2
      - 0
    .max_flat_workgroup_size: 1024
    .name:           _ZN4vllm18act_and_mul_kernelIf15HIP_vector_typeIfLj2EETnPFT_RKS3_EXadL_ZNS_11silu_kernelIfEES3_S5_EETnPFT0_RKS9_EXadL_ZNS_18packed_silu_kernelIS2_EES3_S5_EELb1ELb1ELb1ELb0EEEvPS3_PS4_if
    .private_segment_fixed_size: 0
    .sgpr_count:     29
    .sgpr_spill_count: 0
    .symbol:         _ZN4vllm18act_and_mul_kernelIf15HIP_vector_typeIfLj2EETnPFT_RKS3_EXadL_ZNS_11silu_kernelIfEES3_S5_EETnPFT0_RKS9_EXadL_ZNS_18packed_silu_kernelIS2_EES3_S5_EELb1ELb1ELb1ELb0EEEvPS3_PS4_if.kd
    .uniform_work_group_size: 1
    .uses_dynamic_stack: false
    .vgpr_count:     52
    .vgpr_spill_count: 0
    .wavefront_size: 64
  - .agpr_count:     0
    .args:
      - .actual_access:  write_only
        .address_space:  global
        .offset:         0
        .size:           8
        .value_kind:     global_buffer
      - .actual_access:  read_only
        .address_space:  global
        .offset:         8
        .size:           8
        .value_kind:     global_buffer
      - .offset:         16
        .size:           4
        .value_kind:     by_value
      - .offset:         20
        .size:           4
        .value_kind:     by_value
      - .offset:         24
        .size:           4
        .value_kind:     hidden_block_count_x
      - .offset:         28
        .size:           4
        .value_kind:     hidden_block_count_y
      - .offset:         32
        .size:           4
        .value_kind:     hidden_block_count_z
      - .offset:         36
        .size:           2
        .value_kind:     hidden_group_size_x
      - .offset:         38
        .size:           2
        .value_kind:     hidden_group_size_y
      - .offset:         40
        .size:           2
        .value_kind:     hidden_group_size_z
      - .offset:         42
        .size:           2
        .value_kind:     hidden_remainder_x
      - .offset:         44
        .size:           2
        .value_kind:     hidden_remainder_y
      - .offset:         46
        .size:           2
        .value_kind:     hidden_remainder_z
      - .offset:         64
        .size:           8
        .value_kind:     hidden_global_offset_x
      - .offset:         72
        .size:           8
        .value_kind:     hidden_global_offset_y
      - .offset:         80
        .size:           8
        .value_kind:     hidden_global_offset_z
      - .offset:         88
        .size:           2
        .value_kind:     hidden_grid_dims
    .group_segment_fixed_size: 0
    .kernarg_segment_align: 8
    .kernarg_segment_size: 280
    .language:       OpenCL C
    .language_version:
      - 2
      - 0
    .max_flat_workgroup_size: 1024
    .name:           _ZN4vllm18act_and_mul_kernelIN3c104HalfE7__half2TnPFT_RKS4_EXadL_ZNS_11silu_kernelIS2_EES4_S6_EETnPFT0_RKSA_EXadL_ZNS_18packed_silu_kernelIS3_EES4_S6_EELb1ELb1ELb1ELb0EEEvPS4_PS5_if
    .private_segment_fixed_size: 0
    .sgpr_count:     21
    .sgpr_spill_count: 0
    .symbol:         _ZN4vllm18act_and_mul_kernelIN3c104HalfE7__half2TnPFT_RKS4_EXadL_ZNS_11silu_kernelIS2_EES4_S6_EETnPFT0_RKSA_EXadL_ZNS_18packed_silu_kernelIS3_EES4_S6_EELb1ELb1ELb1ELb0EEEvPS4_PS5_if.kd
    .uniform_work_group_size: 1
    .uses_dynamic_stack: false
    .vgpr_count:     29
    .vgpr_spill_count: 0
    .wavefront_size: 64
  - .agpr_count:     0
    .args:
      - .actual_access:  write_only
        .address_space:  global
        .offset:         0
        .size:           8
        .value_kind:     global_buffer
      - .actual_access:  read_only
        .address_space:  global
        .offset:         8
        .size:           8
        .value_kind:     global_buffer
      - .offset:         16
        .size:           4
        .value_kind:     by_value
      - .offset:         20
        .size:           4
        .value_kind:     by_value
      - .offset:         24
        .size:           4
        .value_kind:     hidden_block_count_x
      - .offset:         28
        .size:           4
        .value_kind:     hidden_block_count_y
      - .offset:         32
        .size:           4
        .value_kind:     hidden_block_count_z
      - .offset:         36
        .size:           2
        .value_kind:     hidden_group_size_x
      - .offset:         38
        .size:           2
        .value_kind:     hidden_group_size_y
      - .offset:         40
        .size:           2
        .value_kind:     hidden_group_size_z
      - .offset:         42
        .size:           2
        .value_kind:     hidden_remainder_x
      - .offset:         44
        .size:           2
        .value_kind:     hidden_remainder_y
      - .offset:         46
        .size:           2
        .value_kind:     hidden_remainder_z
      - .offset:         64
        .size:           8
        .value_kind:     hidden_global_offset_x
      - .offset:         72
        .size:           8
        .value_kind:     hidden_global_offset_y
      - .offset:         80
        .size:           8
        .value_kind:     hidden_global_offset_z
      - .offset:         88
        .size:           2
        .value_kind:     hidden_grid_dims
    .group_segment_fixed_size: 0
    .kernarg_segment_align: 8
    .kernarg_segment_size: 280
    .language:       OpenCL C
    .language_version:
      - 2
      - 0
    .max_flat_workgroup_size: 1024
    .name:           _ZN4vllm18act_and_mul_kernelIN3c108BFloat16E15__hip_bfloat162TnPFT_RKS4_EXadL_ZNS_11silu_kernelIS2_EES4_S6_EETnPFT0_RKSA_EXadL_ZNS_18packed_silu_kernelIS3_EES4_S6_EELb1ELb1ELb1ELb0EEEvPS4_PS5_if
    .private_segment_fixed_size: 0
    .sgpr_count:     20
    .sgpr_spill_count: 0
    .symbol:         _ZN4vllm18act_and_mul_kernelIN3c108BFloat16E15__hip_bfloat162TnPFT_RKS4_EXadL_ZNS_11silu_kernelIS2_EES4_S6_EETnPFT0_RKSA_EXadL_ZNS_18packed_silu_kernelIS3_EES4_S6_EELb1ELb1ELb1ELb0EEEvPS4_PS5_if.kd
    .uniform_work_group_size: 1
    .uses_dynamic_stack: false
    .vgpr_count:     27
    .vgpr_spill_count: 0
    .wavefront_size: 64
  - .agpr_count:     0
    .args:
      - .actual_access:  write_only
        .address_space:  global
        .offset:         0
        .size:           8
        .value_kind:     global_buffer
      - .actual_access:  read_only
        .address_space:  global
        .offset:         8
        .size:           8
        .value_kind:     global_buffer
      - .offset:         16
        .size:           4
        .value_kind:     by_value
      - .offset:         20
        .size:           4
        .value_kind:     by_value
      - .offset:         24
        .size:           4
        .value_kind:     hidden_block_count_x
      - .offset:         28
        .size:           4
        .value_kind:     hidden_block_count_y
      - .offset:         32
        .size:           4
        .value_kind:     hidden_block_count_z
      - .offset:         36
        .size:           2
        .value_kind:     hidden_group_size_x
      - .offset:         38
        .size:           2
        .value_kind:     hidden_group_size_y
      - .offset:         40
        .size:           2
        .value_kind:     hidden_group_size_z
      - .offset:         42
        .size:           2
        .value_kind:     hidden_remainder_x
      - .offset:         44
        .size:           2
        .value_kind:     hidden_remainder_y
      - .offset:         46
        .size:           2
        .value_kind:     hidden_remainder_z
      - .offset:         64
        .size:           8
        .value_kind:     hidden_global_offset_x
      - .offset:         72
        .size:           8
        .value_kind:     hidden_global_offset_y
      - .offset:         80
        .size:           8
        .value_kind:     hidden_global_offset_z
      - .offset:         88
        .size:           2
        .value_kind:     hidden_grid_dims
    .group_segment_fixed_size: 0
    .kernarg_segment_align: 8
    .kernarg_segment_size: 280
    .language:       OpenCL C
    .language_version:
      - 2
      - 0
    .max_flat_workgroup_size: 1024
    .name:           _ZN4vllm18act_and_mul_kernelIf15HIP_vector_typeIfLj2EETnPFT_RKS3_EXadL_ZNS_11silu_kernelIfEES3_S5_EETnPFT0_RKS9_EXadL_ZNS_18packed_silu_kernelIS2_EES3_S5_EELb1ELb0ELb1ELb0EEEvPS3_PS4_if
    .private_segment_fixed_size: 0
    .sgpr_count:     29
    .sgpr_spill_count: 0
    .symbol:         _ZN4vllm18act_and_mul_kernelIf15HIP_vector_typeIfLj2EETnPFT_RKS3_EXadL_ZNS_11silu_kernelIfEES3_S5_EETnPFT0_RKS9_EXadL_ZNS_18packed_silu_kernelIS2_EES3_S5_EELb1ELb0ELb1ELb0EEEvPS3_PS4_if.kd
    .uniform_work_group_size: 1
    .uses_dynamic_stack: false
    .vgpr_count:     37
    .vgpr_spill_count: 0
    .wavefront_size: 64
  - .agpr_count:     0
    .args:
      - .actual_access:  write_only
        .address_space:  global
        .offset:         0
        .size:           8
        .value_kind:     global_buffer
      - .actual_access:  read_only
        .address_space:  global
        .offset:         8
        .size:           8
        .value_kind:     global_buffer
      - .offset:         16
        .size:           4
        .value_kind:     by_value
      - .offset:         20
        .size:           4
        .value_kind:     by_value
      - .offset:         24
        .size:           4
        .value_kind:     hidden_block_count_x
      - .offset:         28
        .size:           4
        .value_kind:     hidden_block_count_y
      - .offset:         32
        .size:           4
        .value_kind:     hidden_block_count_z
      - .offset:         36
        .size:           2
        .value_kind:     hidden_group_size_x
      - .offset:         38
        .size:           2
        .value_kind:     hidden_group_size_y
      - .offset:         40
        .size:           2
        .value_kind:     hidden_group_size_z
      - .offset:         42
        .size:           2
        .value_kind:     hidden_remainder_x
      - .offset:         44
        .size:           2
        .value_kind:     hidden_remainder_y
      - .offset:         46
        .size:           2
        .value_kind:     hidden_remainder_z
      - .offset:         64
        .size:           8
        .value_kind:     hidden_global_offset_x
      - .offset:         72
        .size:           8
        .value_kind:     hidden_global_offset_y
      - .offset:         80
        .size:           8
        .value_kind:     hidden_global_offset_z
      - .offset:         88
        .size:           2
        .value_kind:     hidden_grid_dims
    .group_segment_fixed_size: 0
    .kernarg_segment_align: 8
    .kernarg_segment_size: 280
    .language:       OpenCL C
    .language_version:
      - 2
      - 0
    .max_flat_workgroup_size: 1024
    .name:           _ZN4vllm18act_and_mul_kernelIN3c104HalfE7__half2TnPFT_RKS4_EXadL_ZNS_11silu_kernelIS2_EES4_S6_EETnPFT0_RKSA_EXadL_ZNS_18packed_silu_kernelIS3_EES4_S6_EELb1ELb0ELb1ELb0EEEvPS4_PS5_if
    .private_segment_fixed_size: 0
    .sgpr_count:     34
    .sgpr_spill_count: 0
    .symbol:         _ZN4vllm18act_and_mul_kernelIN3c104HalfE7__half2TnPFT_RKS4_EXadL_ZNS_11silu_kernelIS2_EES4_S6_EETnPFT0_RKSA_EXadL_ZNS_18packed_silu_kernelIS3_EES4_S6_EELb1ELb0ELb1ELb0EEEvPS4_PS5_if.kd
    .uniform_work_group_size: 1
    .uses_dynamic_stack: false
    .vgpr_count:     56
    .vgpr_spill_count: 0
    .wavefront_size: 64
  - .agpr_count:     0
    .args:
      - .actual_access:  write_only
        .address_space:  global
        .offset:         0
        .size:           8
        .value_kind:     global_buffer
      - .actual_access:  read_only
        .address_space:  global
        .offset:         8
        .size:           8
        .value_kind:     global_buffer
      - .offset:         16
        .size:           4
        .value_kind:     by_value
      - .offset:         20
        .size:           4
        .value_kind:     by_value
      - .offset:         24
        .size:           4
        .value_kind:     hidden_block_count_x
      - .offset:         28
        .size:           4
        .value_kind:     hidden_block_count_y
      - .offset:         32
        .size:           4
        .value_kind:     hidden_block_count_z
      - .offset:         36
        .size:           2
        .value_kind:     hidden_group_size_x
      - .offset:         38
        .size:           2
        .value_kind:     hidden_group_size_y
      - .offset:         40
        .size:           2
        .value_kind:     hidden_group_size_z
      - .offset:         42
        .size:           2
        .value_kind:     hidden_remainder_x
      - .offset:         44
        .size:           2
        .value_kind:     hidden_remainder_y
      - .offset:         46
        .size:           2
        .value_kind:     hidden_remainder_z
      - .offset:         64
        .size:           8
        .value_kind:     hidden_global_offset_x
      - .offset:         72
        .size:           8
        .value_kind:     hidden_global_offset_y
      - .offset:         80
        .size:           8
        .value_kind:     hidden_global_offset_z
      - .offset:         88
        .size:           2
        .value_kind:     hidden_grid_dims
    .group_segment_fixed_size: 0
    .kernarg_segment_align: 8
    .kernarg_segment_size: 280
    .language:       OpenCL C
    .language_version:
      - 2
      - 0
    .max_flat_workgroup_size: 1024
    .name:           _ZN4vllm18act_and_mul_kernelIN3c108BFloat16E15__hip_bfloat162TnPFT_RKS4_EXadL_ZNS_11silu_kernelIS2_EES4_S6_EETnPFT0_RKSA_EXadL_ZNS_18packed_silu_kernelIS3_EES4_S6_EELb1ELb0ELb1ELb0EEEvPS4_PS5_if
    .private_segment_fixed_size: 0
    .sgpr_count:     35
    .sgpr_spill_count: 0
    .symbol:         _ZN4vllm18act_and_mul_kernelIN3c108BFloat16E15__hip_bfloat162TnPFT_RKS4_EXadL_ZNS_11silu_kernelIS2_EES4_S6_EETnPFT0_RKSA_EXadL_ZNS_18packed_silu_kernelIS3_EES4_S6_EELb1ELb0ELb1ELb0EEEvPS4_PS5_if.kd
    .uniform_work_group_size: 1
    .uses_dynamic_stack: false
    .vgpr_count:     59
    .vgpr_spill_count: 0
    .wavefront_size: 64
  - .agpr_count:     0
    .args:
      - .actual_access:  read_only
        .address_space:  global
        .offset:         0
        .size:           8
        .value_kind:     global_buffer
      - .actual_access:  read_only
        .address_space:  global
        .offset:         8
        .size:           8
        .value_kind:     global_buffer
      - .offset:         16
        .size:           4
        .value_kind:     by_value
      - .offset:         20
        .size:           4
        .value_kind:     by_value
      - .offset:         24
        .size:           4
        .value_kind:     hidden_block_count_x
      - .offset:         28
        .size:           4
        .value_kind:     hidden_block_count_y
      - .offset:         32
        .size:           4
        .value_kind:     hidden_block_count_z
      - .offset:         36
        .size:           2
        .value_kind:     hidden_group_size_x
      - .offset:         38
        .size:           2
        .value_kind:     hidden_group_size_y
      - .offset:         40
        .size:           2
        .value_kind:     hidden_group_size_z
      - .offset:         42
        .size:           2
        .value_kind:     hidden_remainder_x
      - .offset:         44
        .size:           2
        .value_kind:     hidden_remainder_y
      - .offset:         46
        .size:           2
        .value_kind:     hidden_remainder_z
      - .offset:         64
        .size:           8
        .value_kind:     hidden_global_offset_x
      - .offset:         72
        .size:           8
        .value_kind:     hidden_global_offset_y
      - .offset:         80
        .size:           8
        .value_kind:     hidden_global_offset_z
      - .offset:         88
        .size:           2
        .value_kind:     hidden_grid_dims
      - .offset:         104
        .size:           8
        .value_kind:     hidden_hostcall_buffer
    .group_segment_fixed_size: 0
    .kernarg_segment_align: 8
    .kernarg_segment_size: 280
    .language:       OpenCL C
    .language_version:
      - 2
      - 0
    .max_flat_workgroup_size: 1024
    .name:           _ZN4vllm18act_and_mul_kernelIf15HIP_vector_typeIfLj2EETnPFT_RKS3_EXadL_ZNS_11silu_kernelIfEES3_S5_EETnPFT0_RKS9_EXadL_ZNS_18packed_silu_kernelIS2_EES3_S5_EELb0ELb1ELb0ELb1EEEvPS3_PS4_if
    .private_segment_fixed_size: 64
    .sgpr_count:     40
    .sgpr_spill_count: 0
    .symbol:         _ZN4vllm18act_and_mul_kernelIf15HIP_vector_typeIfLj2EETnPFT_RKS3_EXadL_ZNS_11silu_kernelIfEES3_S5_EETnPFT0_RKS9_EXadL_ZNS_18packed_silu_kernelIS2_EES3_S5_EELb0ELb1ELb0ELb1EEEvPS3_PS4_if.kd
    .uniform_work_group_size: 1
    .uses_dynamic_stack: false
    .vgpr_count:     51
    .vgpr_spill_count: 0
    .wavefront_size: 64
  - .agpr_count:     0
    .args:
      - .actual_access:  read_only
        .address_space:  global
        .offset:         0
        .size:           8
        .value_kind:     global_buffer
      - .actual_access:  read_only
        .address_space:  global
        .offset:         8
        .size:           8
        .value_kind:     global_buffer
      - .offset:         16
        .size:           4
        .value_kind:     by_value
      - .offset:         20
        .size:           4
        .value_kind:     by_value
      - .offset:         24
        .size:           4
        .value_kind:     hidden_block_count_x
      - .offset:         28
        .size:           4
        .value_kind:     hidden_block_count_y
      - .offset:         32
        .size:           4
        .value_kind:     hidden_block_count_z
      - .offset:         36
        .size:           2
        .value_kind:     hidden_group_size_x
      - .offset:         38
        .size:           2
        .value_kind:     hidden_group_size_y
      - .offset:         40
        .size:           2
        .value_kind:     hidden_group_size_z
      - .offset:         42
        .size:           2
        .value_kind:     hidden_remainder_x
      - .offset:         44
        .size:           2
        .value_kind:     hidden_remainder_y
      - .offset:         46
        .size:           2
        .value_kind:     hidden_remainder_z
      - .offset:         64
        .size:           8
        .value_kind:     hidden_global_offset_x
      - .offset:         72
        .size:           8
        .value_kind:     hidden_global_offset_y
      - .offset:         80
        .size:           8
        .value_kind:     hidden_global_offset_z
      - .offset:         88
        .size:           2
        .value_kind:     hidden_grid_dims
      - .offset:         104
        .size:           8
        .value_kind:     hidden_hostcall_buffer
    .group_segment_fixed_size: 0
    .kernarg_segment_align: 8
    .kernarg_segment_size: 280
    .language:       OpenCL C
    .language_version:
      - 2
      - 0
    .max_flat_workgroup_size: 1024
    .name:           _ZN4vllm18act_and_mul_kernelIN3c104HalfE7__half2TnPFT_RKS4_EXadL_ZNS_11silu_kernelIS2_EES4_S6_EETnPFT0_RKSA_EXadL_ZNS_18packed_silu_kernelIS3_EES4_S6_EELb0ELb1ELb0ELb1EEEvPS4_PS5_if
    .private_segment_fixed_size: 64
    .sgpr_count:     40
    .sgpr_spill_count: 0
    .symbol:         _ZN4vllm18act_and_mul_kernelIN3c104HalfE7__half2TnPFT_RKS4_EXadL_ZNS_11silu_kernelIS2_EES4_S6_EETnPFT0_RKSA_EXadL_ZNS_18packed_silu_kernelIS3_EES4_S6_EELb0ELb1ELb0ELb1EEEvPS4_PS5_if.kd
    .uniform_work_group_size: 1
    .uses_dynamic_stack: false
    .vgpr_count:     51
    .vgpr_spill_count: 0
    .wavefront_size: 64
  - .agpr_count:     0
    .args:
      - .actual_access:  read_only
        .address_space:  global
        .offset:         0
        .size:           8
        .value_kind:     global_buffer
      - .actual_access:  read_only
        .address_space:  global
        .offset:         8
        .size:           8
        .value_kind:     global_buffer
      - .offset:         16
        .size:           4
        .value_kind:     by_value
      - .offset:         20
        .size:           4
        .value_kind:     by_value
      - .offset:         24
        .size:           4
        .value_kind:     hidden_block_count_x
      - .offset:         28
        .size:           4
        .value_kind:     hidden_block_count_y
      - .offset:         32
        .size:           4
        .value_kind:     hidden_block_count_z
      - .offset:         36
        .size:           2
        .value_kind:     hidden_group_size_x
      - .offset:         38
        .size:           2
        .value_kind:     hidden_group_size_y
      - .offset:         40
        .size:           2
        .value_kind:     hidden_group_size_z
      - .offset:         42
        .size:           2
        .value_kind:     hidden_remainder_x
      - .offset:         44
        .size:           2
        .value_kind:     hidden_remainder_y
      - .offset:         46
        .size:           2
        .value_kind:     hidden_remainder_z
      - .offset:         64
        .size:           8
        .value_kind:     hidden_global_offset_x
      - .offset:         72
        .size:           8
        .value_kind:     hidden_global_offset_y
      - .offset:         80
        .size:           8
        .value_kind:     hidden_global_offset_z
      - .offset:         88
        .size:           2
        .value_kind:     hidden_grid_dims
      - .offset:         104
        .size:           8
        .value_kind:     hidden_hostcall_buffer
    .group_segment_fixed_size: 0
    .kernarg_segment_align: 8
    .kernarg_segment_size: 280
    .language:       OpenCL C
    .language_version:
      - 2
      - 0
    .max_flat_workgroup_size: 1024
    .name:           _ZN4vllm18act_and_mul_kernelIN3c108BFloat16E15__hip_bfloat162TnPFT_RKS4_EXadL_ZNS_11silu_kernelIS2_EES4_S6_EETnPFT0_RKSA_EXadL_ZNS_18packed_silu_kernelIS3_EES4_S6_EELb0ELb1ELb0ELb1EEEvPS4_PS5_if
    .private_segment_fixed_size: 64
    .sgpr_count:     40
    .sgpr_spill_count: 0
    .symbol:         _ZN4vllm18act_and_mul_kernelIN3c108BFloat16E15__hip_bfloat162TnPFT_RKS4_EXadL_ZNS_11silu_kernelIS2_EES4_S6_EETnPFT0_RKSA_EXadL_ZNS_18packed_silu_kernelIS3_EES4_S6_EELb0ELb1ELb0ELb1EEEvPS4_PS5_if.kd
    .uniform_work_group_size: 1
    .uses_dynamic_stack: false
    .vgpr_count:     51
    .vgpr_spill_count: 0
    .wavefront_size: 64
  - .agpr_count:     0
    .args:
      - .actual_access:  write_only
        .address_space:  global
        .offset:         0
        .size:           8
        .value_kind:     global_buffer
      - .actual_access:  read_only
        .address_space:  global
        .offset:         8
        .size:           8
        .value_kind:     global_buffer
      - .offset:         16
        .size:           4
        .value_kind:     by_value
      - .offset:         20
        .size:           4
        .value_kind:     by_value
      - .offset:         24
        .size:           4
        .value_kind:     hidden_block_count_x
      - .offset:         28
        .size:           4
        .value_kind:     hidden_block_count_y
      - .offset:         32
        .size:           4
        .value_kind:     hidden_block_count_z
      - .offset:         36
        .size:           2
        .value_kind:     hidden_group_size_x
      - .offset:         38
        .size:           2
        .value_kind:     hidden_group_size_y
      - .offset:         40
        .size:           2
        .value_kind:     hidden_group_size_z
      - .offset:         42
        .size:           2
        .value_kind:     hidden_remainder_x
      - .offset:         44
        .size:           2
        .value_kind:     hidden_remainder_y
      - .offset:         46
        .size:           2
        .value_kind:     hidden_remainder_z
      - .offset:         64
        .size:           8
        .value_kind:     hidden_global_offset_x
      - .offset:         72
        .size:           8
        .value_kind:     hidden_global_offset_y
      - .offset:         80
        .size:           8
        .value_kind:     hidden_global_offset_z
      - .offset:         88
        .size:           2
        .value_kind:     hidden_grid_dims
    .group_segment_fixed_size: 0
    .kernarg_segment_align: 8
    .kernarg_segment_size: 280
    .language:       OpenCL C
    .language_version:
      - 2
      - 0
    .max_flat_workgroup_size: 1024
    .name:           _ZN4vllm18act_and_mul_kernelIf15HIP_vector_typeIfLj2EETnPFT_RKS3_EXadL_ZNS_11silu_kernelIfEES3_S5_EETnPFT0_RKS9_EXadL_ZNS_18packed_silu_kernelIS2_EES3_S5_EELb0ELb1ELb0ELb0EEEvPS3_PS4_if
    .private_segment_fixed_size: 0
    .sgpr_count:     24
    .sgpr_spill_count: 0
    .symbol:         _ZN4vllm18act_and_mul_kernelIf15HIP_vector_typeIfLj2EETnPFT_RKS3_EXadL_ZNS_11silu_kernelIfEES3_S5_EETnPFT0_RKS9_EXadL_ZNS_18packed_silu_kernelIS2_EES3_S5_EELb0ELb1ELb0ELb0EEEvPS3_PS4_if.kd
    .uniform_work_group_size: 1
    .uses_dynamic_stack: false
    .vgpr_count:     42
    .vgpr_spill_count: 0
    .wavefront_size: 64
  - .agpr_count:     0
    .args:
      - .actual_access:  write_only
        .address_space:  global
        .offset:         0
        .size:           8
        .value_kind:     global_buffer
      - .actual_access:  read_only
        .address_space:  global
        .offset:         8
        .size:           8
        .value_kind:     global_buffer
      - .offset:         16
        .size:           4
        .value_kind:     by_value
      - .offset:         20
        .size:           4
        .value_kind:     by_value
      - .offset:         24
        .size:           4
        .value_kind:     hidden_block_count_x
      - .offset:         28
        .size:           4
        .value_kind:     hidden_block_count_y
      - .offset:         32
        .size:           4
        .value_kind:     hidden_block_count_z
      - .offset:         36
        .size:           2
        .value_kind:     hidden_group_size_x
      - .offset:         38
        .size:           2
        .value_kind:     hidden_group_size_y
      - .offset:         40
        .size:           2
        .value_kind:     hidden_group_size_z
      - .offset:         42
        .size:           2
        .value_kind:     hidden_remainder_x
      - .offset:         44
        .size:           2
        .value_kind:     hidden_remainder_y
      - .offset:         46
        .size:           2
        .value_kind:     hidden_remainder_z
      - .offset:         64
        .size:           8
        .value_kind:     hidden_global_offset_x
      - .offset:         72
        .size:           8
        .value_kind:     hidden_global_offset_y
      - .offset:         80
        .size:           8
        .value_kind:     hidden_global_offset_z
      - .offset:         88
        .size:           2
        .value_kind:     hidden_grid_dims
    .group_segment_fixed_size: 0
    .kernarg_segment_align: 8
    .kernarg_segment_size: 280
    .language:       OpenCL C
    .language_version:
      - 2
      - 0
    .max_flat_workgroup_size: 1024
    .name:           _ZN4vllm18act_and_mul_kernelIN3c104HalfE7__half2TnPFT_RKS4_EXadL_ZNS_11silu_kernelIS2_EES4_S6_EETnPFT0_RKSA_EXadL_ZNS_18packed_silu_kernelIS3_EES4_S6_EELb0ELb1ELb0ELb0EEEvPS4_PS5_if
    .private_segment_fixed_size: 0
    .sgpr_count:     31
    .sgpr_spill_count: 0
    .symbol:         _ZN4vllm18act_and_mul_kernelIN3c104HalfE7__half2TnPFT_RKS4_EXadL_ZNS_11silu_kernelIS2_EES4_S6_EETnPFT0_RKSA_EXadL_ZNS_18packed_silu_kernelIS3_EES4_S6_EELb0ELb1ELb0ELb0EEEvPS4_PS5_if.kd
    .uniform_work_group_size: 1
    .uses_dynamic_stack: false
    .vgpr_count:     62
    .vgpr_spill_count: 0
    .wavefront_size: 64
  - .agpr_count:     0
    .args:
      - .actual_access:  write_only
        .address_space:  global
        .offset:         0
        .size:           8
        .value_kind:     global_buffer
      - .actual_access:  read_only
        .address_space:  global
        .offset:         8
        .size:           8
        .value_kind:     global_buffer
      - .offset:         16
        .size:           4
        .value_kind:     by_value
      - .offset:         20
        .size:           4
        .value_kind:     by_value
      - .offset:         24
        .size:           4
        .value_kind:     hidden_block_count_x
      - .offset:         28
        .size:           4
        .value_kind:     hidden_block_count_y
      - .offset:         32
        .size:           4
        .value_kind:     hidden_block_count_z
      - .offset:         36
        .size:           2
        .value_kind:     hidden_group_size_x
      - .offset:         38
        .size:           2
        .value_kind:     hidden_group_size_y
      - .offset:         40
        .size:           2
        .value_kind:     hidden_group_size_z
      - .offset:         42
        .size:           2
        .value_kind:     hidden_remainder_x
      - .offset:         44
        .size:           2
        .value_kind:     hidden_remainder_y
      - .offset:         46
        .size:           2
        .value_kind:     hidden_remainder_z
      - .offset:         64
        .size:           8
        .value_kind:     hidden_global_offset_x
      - .offset:         72
        .size:           8
        .value_kind:     hidden_global_offset_y
      - .offset:         80
        .size:           8
        .value_kind:     hidden_global_offset_z
      - .offset:         88
        .size:           2
        .value_kind:     hidden_grid_dims
    .group_segment_fixed_size: 0
    .kernarg_segment_align: 8
    .kernarg_segment_size: 280
    .language:       OpenCL C
    .language_version:
      - 2
      - 0
    .max_flat_workgroup_size: 1024
    .name:           _ZN4vllm18act_and_mul_kernelIN3c108BFloat16E15__hip_bfloat162TnPFT_RKS4_EXadL_ZNS_11silu_kernelIS2_EES4_S6_EETnPFT0_RKSA_EXadL_ZNS_18packed_silu_kernelIS3_EES4_S6_EELb0ELb1ELb0ELb0EEEvPS4_PS5_if
    .private_segment_fixed_size: 0
    .sgpr_count:     20
    .sgpr_spill_count: 0
    .symbol:         _ZN4vllm18act_and_mul_kernelIN3c108BFloat16E15__hip_bfloat162TnPFT_RKS4_EXadL_ZNS_11silu_kernelIS2_EES4_S6_EETnPFT0_RKSA_EXadL_ZNS_18packed_silu_kernelIS3_EES4_S6_EELb0ELb1ELb0ELb0EEEvPS4_PS5_if.kd
    .uniform_work_group_size: 1
    .uses_dynamic_stack: false
    .vgpr_count:     24
    .vgpr_spill_count: 0
    .wavefront_size: 64
  - .agpr_count:     0
    .args:
      - .actual_access:  write_only
        .address_space:  global
        .offset:         0
        .size:           8
        .value_kind:     global_buffer
      - .actual_access:  read_only
        .address_space:  global
        .offset:         8
        .size:           8
        .value_kind:     global_buffer
      - .offset:         16
        .size:           4
        .value_kind:     by_value
      - .offset:         20
        .size:           4
        .value_kind:     by_value
      - .offset:         24
        .size:           4
        .value_kind:     hidden_block_count_x
      - .offset:         28
        .size:           4
        .value_kind:     hidden_block_count_y
      - .offset:         32
        .size:           4
        .value_kind:     hidden_block_count_z
      - .offset:         36
        .size:           2
        .value_kind:     hidden_group_size_x
      - .offset:         38
        .size:           2
        .value_kind:     hidden_group_size_y
      - .offset:         40
        .size:           2
        .value_kind:     hidden_group_size_z
      - .offset:         42
        .size:           2
        .value_kind:     hidden_remainder_x
      - .offset:         44
        .size:           2
        .value_kind:     hidden_remainder_y
      - .offset:         46
        .size:           2
        .value_kind:     hidden_remainder_z
      - .offset:         64
        .size:           8
        .value_kind:     hidden_global_offset_x
      - .offset:         72
        .size:           8
        .value_kind:     hidden_global_offset_y
      - .offset:         80
        .size:           8
        .value_kind:     hidden_global_offset_z
      - .offset:         88
        .size:           2
        .value_kind:     hidden_grid_dims
    .group_segment_fixed_size: 0
    .kernarg_segment_align: 8
    .kernarg_segment_size: 280
    .language:       OpenCL C
    .language_version:
      - 2
      - 0
    .max_flat_workgroup_size: 1024
    .name:           _ZN4vllm18act_and_mul_kernelIf15HIP_vector_typeIfLj2EETnPFT_RKS3_EXadL_ZNS_11silu_kernelIfEES3_S5_EETnPFT0_RKS9_EXadL_ZNS_18packed_silu_kernelIS2_EES3_S5_EELb0ELb0ELb0ELb0EEEvPS3_PS4_if
    .private_segment_fixed_size: 0
    .sgpr_count:     28
    .sgpr_spill_count: 0
    .symbol:         _ZN4vllm18act_and_mul_kernelIf15HIP_vector_typeIfLj2EETnPFT_RKS3_EXadL_ZNS_11silu_kernelIfEES3_S5_EETnPFT0_RKS9_EXadL_ZNS_18packed_silu_kernelIS2_EES3_S5_EELb0ELb0ELb0ELb0EEEvPS3_PS4_if.kd
    .uniform_work_group_size: 1
    .uses_dynamic_stack: false
    .vgpr_count:     33
    .vgpr_spill_count: 0
    .wavefront_size: 64
  - .agpr_count:     0
    .args:
      - .actual_access:  write_only
        .address_space:  global
        .offset:         0
        .size:           8
        .value_kind:     global_buffer
      - .actual_access:  read_only
        .address_space:  global
        .offset:         8
        .size:           8
        .value_kind:     global_buffer
      - .offset:         16
        .size:           4
        .value_kind:     by_value
      - .offset:         20
        .size:           4
        .value_kind:     by_value
      - .offset:         24
        .size:           4
        .value_kind:     hidden_block_count_x
      - .offset:         28
        .size:           4
        .value_kind:     hidden_block_count_y
      - .offset:         32
        .size:           4
        .value_kind:     hidden_block_count_z
      - .offset:         36
        .size:           2
        .value_kind:     hidden_group_size_x
      - .offset:         38
        .size:           2
        .value_kind:     hidden_group_size_y
      - .offset:         40
        .size:           2
        .value_kind:     hidden_group_size_z
      - .offset:         42
        .size:           2
        .value_kind:     hidden_remainder_x
      - .offset:         44
        .size:           2
        .value_kind:     hidden_remainder_y
      - .offset:         46
        .size:           2
        .value_kind:     hidden_remainder_z
      - .offset:         64
        .size:           8
        .value_kind:     hidden_global_offset_x
      - .offset:         72
        .size:           8
        .value_kind:     hidden_global_offset_y
      - .offset:         80
        .size:           8
        .value_kind:     hidden_global_offset_z
      - .offset:         88
        .size:           2
        .value_kind:     hidden_grid_dims
    .group_segment_fixed_size: 0
    .kernarg_segment_align: 8
    .kernarg_segment_size: 280
    .language:       OpenCL C
    .language_version:
      - 2
      - 0
    .max_flat_workgroup_size: 1024
    .name:           _ZN4vllm18act_and_mul_kernelIN3c104HalfE7__half2TnPFT_RKS4_EXadL_ZNS_11silu_kernelIS2_EES4_S6_EETnPFT0_RKSA_EXadL_ZNS_18packed_silu_kernelIS3_EES4_S6_EELb0ELb0ELb0ELb0EEEvPS4_PS5_if
    .private_segment_fixed_size: 0
    .sgpr_count:     35
    .sgpr_spill_count: 0
    .symbol:         _ZN4vllm18act_and_mul_kernelIN3c104HalfE7__half2TnPFT_RKS4_EXadL_ZNS_11silu_kernelIS2_EES4_S6_EETnPFT0_RKSA_EXadL_ZNS_18packed_silu_kernelIS3_EES4_S6_EELb0ELb0ELb0ELb0EEEvPS4_PS5_if.kd
    .uniform_work_group_size: 1
    .uses_dynamic_stack: false
    .vgpr_count:     47
    .vgpr_spill_count: 0
    .wavefront_size: 64
  - .agpr_count:     0
    .args:
      - .actual_access:  write_only
        .address_space:  global
        .offset:         0
        .size:           8
        .value_kind:     global_buffer
      - .actual_access:  read_only
        .address_space:  global
        .offset:         8
        .size:           8
        .value_kind:     global_buffer
      - .offset:         16
        .size:           4
        .value_kind:     by_value
      - .offset:         20
        .size:           4
        .value_kind:     by_value
      - .offset:         24
        .size:           4
        .value_kind:     hidden_block_count_x
      - .offset:         28
        .size:           4
        .value_kind:     hidden_block_count_y
      - .offset:         32
        .size:           4
        .value_kind:     hidden_block_count_z
      - .offset:         36
        .size:           2
        .value_kind:     hidden_group_size_x
      - .offset:         38
        .size:           2
        .value_kind:     hidden_group_size_y
      - .offset:         40
        .size:           2
        .value_kind:     hidden_group_size_z
      - .offset:         42
        .size:           2
        .value_kind:     hidden_remainder_x
      - .offset:         44
        .size:           2
        .value_kind:     hidden_remainder_y
      - .offset:         46
        .size:           2
        .value_kind:     hidden_remainder_z
      - .offset:         64
        .size:           8
        .value_kind:     hidden_global_offset_x
      - .offset:         72
        .size:           8
        .value_kind:     hidden_global_offset_y
      - .offset:         80
        .size:           8
        .value_kind:     hidden_global_offset_z
      - .offset:         88
        .size:           2
        .value_kind:     hidden_grid_dims
    .group_segment_fixed_size: 0
    .kernarg_segment_align: 8
    .kernarg_segment_size: 280
    .language:       OpenCL C
    .language_version:
      - 2
      - 0
    .max_flat_workgroup_size: 1024
    .name:           _ZN4vllm18act_and_mul_kernelIN3c108BFloat16E15__hip_bfloat162TnPFT_RKS4_EXadL_ZNS_11silu_kernelIS2_EES4_S6_EETnPFT0_RKSA_EXadL_ZNS_18packed_silu_kernelIS3_EES4_S6_EELb0ELb0ELb0ELb0EEEvPS4_PS5_if
    .private_segment_fixed_size: 0
    .sgpr_count:     34
    .sgpr_spill_count: 0
    .symbol:         _ZN4vllm18act_and_mul_kernelIN3c108BFloat16E15__hip_bfloat162TnPFT_RKS4_EXadL_ZNS_11silu_kernelIS2_EES4_S6_EETnPFT0_RKSA_EXadL_ZNS_18packed_silu_kernelIS3_EES4_S6_EELb0ELb0ELb0ELb0EEEvPS4_PS5_if.kd
    .uniform_work_group_size: 1
    .uses_dynamic_stack: false
    .vgpr_count:     51
    .vgpr_spill_count: 0
    .wavefront_size: 64
  - .agpr_count:     0
    .args:
      - .actual_access:  read_only
        .address_space:  global
        .offset:         0
        .size:           8
        .value_kind:     global_buffer
      - .actual_access:  read_only
        .address_space:  global
        .offset:         8
        .size:           8
        .value_kind:     global_buffer
      - .offset:         16
        .size:           4
        .value_kind:     by_value
      - .offset:         20
        .size:           4
        .value_kind:     by_value
      - .offset:         24
        .size:           4
        .value_kind:     hidden_block_count_x
      - .offset:         28
        .size:           4
        .value_kind:     hidden_block_count_y
      - .offset:         32
        .size:           4
        .value_kind:     hidden_block_count_z
      - .offset:         36
        .size:           2
        .value_kind:     hidden_group_size_x
      - .offset:         38
        .size:           2
        .value_kind:     hidden_group_size_y
      - .offset:         40
        .size:           2
        .value_kind:     hidden_group_size_z
      - .offset:         42
        .size:           2
        .value_kind:     hidden_remainder_x
      - .offset:         44
        .size:           2
        .value_kind:     hidden_remainder_y
      - .offset:         46
        .size:           2
        .value_kind:     hidden_remainder_z
      - .offset:         64
        .size:           8
        .value_kind:     hidden_global_offset_x
      - .offset:         72
        .size:           8
        .value_kind:     hidden_global_offset_y
      - .offset:         80
        .size:           8
        .value_kind:     hidden_global_offset_z
      - .offset:         88
        .size:           2
        .value_kind:     hidden_grid_dims
      - .offset:         104
        .size:           8
        .value_kind:     hidden_hostcall_buffer
    .group_segment_fixed_size: 0
    .kernarg_segment_align: 8
    .kernarg_segment_size: 280
    .language:       OpenCL C
    .language_version:
      - 2
      - 0
    .max_flat_workgroup_size: 1024
    .name:           _ZN4vllm18act_and_mul_kernelIf15HIP_vector_typeIfLj2EETnPFT_RKS3_EXadL_ZNS_11gelu_kernelIfEES3_S5_EETnPFT0_RKS9_EXadL_ZNS_18packed_gelu_kernelIS2_EES3_S5_EELb1ELb1ELb0ELb1EEEvPS3_PS4_if
    .private_segment_fixed_size: 64
    .sgpr_count:     40
    .sgpr_spill_count: 0
    .symbol:         _ZN4vllm18act_and_mul_kernelIf15HIP_vector_typeIfLj2EETnPFT_RKS3_EXadL_ZNS_11gelu_kernelIfEES3_S5_EETnPFT0_RKS9_EXadL_ZNS_18packed_gelu_kernelIS2_EES3_S5_EELb1ELb1ELb0ELb1EEEvPS3_PS4_if.kd
    .uniform_work_group_size: 1
    .uses_dynamic_stack: false
    .vgpr_count:     51
    .vgpr_spill_count: 0
    .wavefront_size: 64
  - .agpr_count:     0
    .args:
      - .actual_access:  read_only
        .address_space:  global
        .offset:         0
        .size:           8
        .value_kind:     global_buffer
      - .actual_access:  read_only
        .address_space:  global
        .offset:         8
        .size:           8
        .value_kind:     global_buffer
      - .offset:         16
        .size:           4
        .value_kind:     by_value
      - .offset:         20
        .size:           4
        .value_kind:     by_value
      - .offset:         24
        .size:           4
        .value_kind:     hidden_block_count_x
      - .offset:         28
        .size:           4
        .value_kind:     hidden_block_count_y
      - .offset:         32
        .size:           4
        .value_kind:     hidden_block_count_z
      - .offset:         36
        .size:           2
        .value_kind:     hidden_group_size_x
      - .offset:         38
        .size:           2
        .value_kind:     hidden_group_size_y
      - .offset:         40
        .size:           2
        .value_kind:     hidden_group_size_z
      - .offset:         42
        .size:           2
        .value_kind:     hidden_remainder_x
      - .offset:         44
        .size:           2
        .value_kind:     hidden_remainder_y
      - .offset:         46
        .size:           2
        .value_kind:     hidden_remainder_z
      - .offset:         64
        .size:           8
        .value_kind:     hidden_global_offset_x
      - .offset:         72
        .size:           8
        .value_kind:     hidden_global_offset_y
      - .offset:         80
        .size:           8
        .value_kind:     hidden_global_offset_z
      - .offset:         88
        .size:           2
        .value_kind:     hidden_grid_dims
      - .offset:         104
        .size:           8
        .value_kind:     hidden_hostcall_buffer
    .group_segment_fixed_size: 0
    .kernarg_segment_align: 8
    .kernarg_segment_size: 280
    .language:       OpenCL C
    .language_version:
      - 2
      - 0
    .max_flat_workgroup_size: 1024
    .name:           _ZN4vllm18act_and_mul_kernelIN3c104HalfE7__half2TnPFT_RKS4_EXadL_ZNS_11gelu_kernelIS2_EES4_S6_EETnPFT0_RKSA_EXadL_ZNS_18packed_gelu_kernelIS3_EES4_S6_EELb1ELb1ELb0ELb1EEEvPS4_PS5_if
    .private_segment_fixed_size: 64
    .sgpr_count:     40
    .sgpr_spill_count: 0
    .symbol:         _ZN4vllm18act_and_mul_kernelIN3c104HalfE7__half2TnPFT_RKS4_EXadL_ZNS_11gelu_kernelIS2_EES4_S6_EETnPFT0_RKSA_EXadL_ZNS_18packed_gelu_kernelIS3_EES4_S6_EELb1ELb1ELb0ELb1EEEvPS4_PS5_if.kd
    .uniform_work_group_size: 1
    .uses_dynamic_stack: false
    .vgpr_count:     51
    .vgpr_spill_count: 0
    .wavefront_size: 64
  - .agpr_count:     0
    .args:
      - .actual_access:  read_only
        .address_space:  global
        .offset:         0
        .size:           8
        .value_kind:     global_buffer
      - .actual_access:  read_only
        .address_space:  global
        .offset:         8
        .size:           8
        .value_kind:     global_buffer
      - .offset:         16
        .size:           4
        .value_kind:     by_value
      - .offset:         20
        .size:           4
        .value_kind:     by_value
      - .offset:         24
        .size:           4
        .value_kind:     hidden_block_count_x
      - .offset:         28
        .size:           4
        .value_kind:     hidden_block_count_y
      - .offset:         32
        .size:           4
        .value_kind:     hidden_block_count_z
      - .offset:         36
        .size:           2
        .value_kind:     hidden_group_size_x
      - .offset:         38
        .size:           2
        .value_kind:     hidden_group_size_y
      - .offset:         40
        .size:           2
        .value_kind:     hidden_group_size_z
      - .offset:         42
        .size:           2
        .value_kind:     hidden_remainder_x
      - .offset:         44
        .size:           2
        .value_kind:     hidden_remainder_y
      - .offset:         46
        .size:           2
        .value_kind:     hidden_remainder_z
      - .offset:         64
        .size:           8
        .value_kind:     hidden_global_offset_x
      - .offset:         72
        .size:           8
        .value_kind:     hidden_global_offset_y
      - .offset:         80
        .size:           8
        .value_kind:     hidden_global_offset_z
      - .offset:         88
        .size:           2
        .value_kind:     hidden_grid_dims
      - .offset:         104
        .size:           8
        .value_kind:     hidden_hostcall_buffer
    .group_segment_fixed_size: 0
    .kernarg_segment_align: 8
    .kernarg_segment_size: 280
    .language:       OpenCL C
    .language_version:
      - 2
      - 0
    .max_flat_workgroup_size: 1024
    .name:           _ZN4vllm18act_and_mul_kernelIN3c108BFloat16E15__hip_bfloat162TnPFT_RKS4_EXadL_ZNS_11gelu_kernelIS2_EES4_S6_EETnPFT0_RKSA_EXadL_ZNS_18packed_gelu_kernelIS3_EES4_S6_EELb1ELb1ELb0ELb1EEEvPS4_PS5_if
    .private_segment_fixed_size: 64
    .sgpr_count:     40
    .sgpr_spill_count: 0
    .symbol:         _ZN4vllm18act_and_mul_kernelIN3c108BFloat16E15__hip_bfloat162TnPFT_RKS4_EXadL_ZNS_11gelu_kernelIS2_EES4_S6_EETnPFT0_RKSA_EXadL_ZNS_18packed_gelu_kernelIS3_EES4_S6_EELb1ELb1ELb0ELb1EEEvPS4_PS5_if.kd
    .uniform_work_group_size: 1
    .uses_dynamic_stack: false
    .vgpr_count:     51
    .vgpr_spill_count: 0
    .wavefront_size: 64
  - .agpr_count:     0
    .args:
      - .actual_access:  write_only
        .address_space:  global
        .offset:         0
        .size:           8
        .value_kind:     global_buffer
      - .actual_access:  read_only
        .address_space:  global
        .offset:         8
        .size:           8
        .value_kind:     global_buffer
      - .offset:         16
        .size:           4
        .value_kind:     by_value
      - .offset:         20
        .size:           4
        .value_kind:     by_value
      - .offset:         24
        .size:           4
        .value_kind:     hidden_block_count_x
      - .offset:         28
        .size:           4
        .value_kind:     hidden_block_count_y
      - .offset:         32
        .size:           4
        .value_kind:     hidden_block_count_z
      - .offset:         36
        .size:           2
        .value_kind:     hidden_group_size_x
      - .offset:         38
        .size:           2
        .value_kind:     hidden_group_size_y
      - .offset:         40
        .size:           2
        .value_kind:     hidden_group_size_z
      - .offset:         42
        .size:           2
        .value_kind:     hidden_remainder_x
      - .offset:         44
        .size:           2
        .value_kind:     hidden_remainder_y
      - .offset:         46
        .size:           2
        .value_kind:     hidden_remainder_z
      - .offset:         64
        .size:           8
        .value_kind:     hidden_global_offset_x
      - .offset:         72
        .size:           8
        .value_kind:     hidden_global_offset_y
      - .offset:         80
        .size:           8
        .value_kind:     hidden_global_offset_z
      - .offset:         88
        .size:           2
        .value_kind:     hidden_grid_dims
    .group_segment_fixed_size: 0
    .kernarg_segment_align: 8
    .kernarg_segment_size: 280
    .language:       OpenCL C
    .language_version:
      - 2
      - 0
    .max_flat_workgroup_size: 1024
    .name:           _ZN4vllm18act_and_mul_kernelIf15HIP_vector_typeIfLj2EETnPFT_RKS3_EXadL_ZNS_11gelu_kernelIfEES3_S5_EETnPFT0_RKS9_EXadL_ZNS_18packed_gelu_kernelIS2_EES3_S5_EELb1ELb1ELb0ELb0EEEvPS3_PS4_if
    .private_segment_fixed_size: 0
    .sgpr_count:     26
    .sgpr_spill_count: 0
    .symbol:         _ZN4vllm18act_and_mul_kernelIf15HIP_vector_typeIfLj2EETnPFT_RKS3_EXadL_ZNS_11gelu_kernelIfEES3_S5_EETnPFT0_RKS9_EXadL_ZNS_18packed_gelu_kernelIS2_EES3_S5_EELb1ELb1ELb0ELb0EEEvPS3_PS4_if.kd
    .uniform_work_group_size: 1
    .uses_dynamic_stack: false
    .vgpr_count:     32
    .vgpr_spill_count: 0
    .wavefront_size: 64
  - .agpr_count:     0
    .args:
      - .actual_access:  write_only
        .address_space:  global
        .offset:         0
        .size:           8
        .value_kind:     global_buffer
      - .actual_access:  read_only
        .address_space:  global
        .offset:         8
        .size:           8
        .value_kind:     global_buffer
      - .offset:         16
        .size:           4
        .value_kind:     by_value
      - .offset:         20
        .size:           4
        .value_kind:     by_value
      - .offset:         24
        .size:           4
        .value_kind:     hidden_block_count_x
      - .offset:         28
        .size:           4
        .value_kind:     hidden_block_count_y
      - .offset:         32
        .size:           4
        .value_kind:     hidden_block_count_z
      - .offset:         36
        .size:           2
        .value_kind:     hidden_group_size_x
      - .offset:         38
        .size:           2
        .value_kind:     hidden_group_size_y
      - .offset:         40
        .size:           2
        .value_kind:     hidden_group_size_z
      - .offset:         42
        .size:           2
        .value_kind:     hidden_remainder_x
      - .offset:         44
        .size:           2
        .value_kind:     hidden_remainder_y
      - .offset:         46
        .size:           2
        .value_kind:     hidden_remainder_z
      - .offset:         64
        .size:           8
        .value_kind:     hidden_global_offset_x
      - .offset:         72
        .size:           8
        .value_kind:     hidden_global_offset_y
      - .offset:         80
        .size:           8
        .value_kind:     hidden_global_offset_z
      - .offset:         88
        .size:           2
        .value_kind:     hidden_grid_dims
    .group_segment_fixed_size: 0
    .kernarg_segment_align: 8
    .kernarg_segment_size: 280
    .language:       OpenCL C
    .language_version:
      - 2
      - 0
    .max_flat_workgroup_size: 1024
    .name:           _ZN4vllm18act_and_mul_kernelIN3c104HalfE7__half2TnPFT_RKS4_EXadL_ZNS_11gelu_kernelIS2_EES4_S6_EETnPFT0_RKSA_EXadL_ZNS_18packed_gelu_kernelIS3_EES4_S6_EELb1ELb1ELb0ELb0EEEvPS4_PS5_if
    .private_segment_fixed_size: 0
    .sgpr_count:     26
    .sgpr_spill_count: 0
    .symbol:         _ZN4vllm18act_and_mul_kernelIN3c104HalfE7__half2TnPFT_RKS4_EXadL_ZNS_11gelu_kernelIS2_EES4_S6_EETnPFT0_RKSA_EXadL_ZNS_18packed_gelu_kernelIS3_EES4_S6_EELb1ELb1ELb0ELb0EEEvPS4_PS5_if.kd
    .uniform_work_group_size: 1
    .uses_dynamic_stack: false
    .vgpr_count:     44
    .vgpr_spill_count: 0
    .wavefront_size: 64
  - .agpr_count:     0
    .args:
      - .actual_access:  write_only
        .address_space:  global
        .offset:         0
        .size:           8
        .value_kind:     global_buffer
      - .actual_access:  read_only
        .address_space:  global
        .offset:         8
        .size:           8
        .value_kind:     global_buffer
      - .offset:         16
        .size:           4
        .value_kind:     by_value
      - .offset:         20
        .size:           4
        .value_kind:     by_value
      - .offset:         24
        .size:           4
        .value_kind:     hidden_block_count_x
      - .offset:         28
        .size:           4
        .value_kind:     hidden_block_count_y
      - .offset:         32
        .size:           4
        .value_kind:     hidden_block_count_z
      - .offset:         36
        .size:           2
        .value_kind:     hidden_group_size_x
      - .offset:         38
        .size:           2
        .value_kind:     hidden_group_size_y
      - .offset:         40
        .size:           2
        .value_kind:     hidden_group_size_z
      - .offset:         42
        .size:           2
        .value_kind:     hidden_remainder_x
      - .offset:         44
        .size:           2
        .value_kind:     hidden_remainder_y
      - .offset:         46
        .size:           2
        .value_kind:     hidden_remainder_z
      - .offset:         64
        .size:           8
        .value_kind:     hidden_global_offset_x
      - .offset:         72
        .size:           8
        .value_kind:     hidden_global_offset_y
      - .offset:         80
        .size:           8
        .value_kind:     hidden_global_offset_z
      - .offset:         88
        .size:           2
        .value_kind:     hidden_grid_dims
    .group_segment_fixed_size: 0
    .kernarg_segment_align: 8
    .kernarg_segment_size: 280
    .language:       OpenCL C
    .language_version:
      - 2
      - 0
    .max_flat_workgroup_size: 1024
    .name:           _ZN4vllm18act_and_mul_kernelIN3c108BFloat16E15__hip_bfloat162TnPFT_RKS4_EXadL_ZNS_11gelu_kernelIS2_EES4_S6_EETnPFT0_RKSA_EXadL_ZNS_18packed_gelu_kernelIS3_EES4_S6_EELb1ELb1ELb0ELb0EEEvPS4_PS5_if
    .private_segment_fixed_size: 0
    .sgpr_count:     28
    .sgpr_spill_count: 0
    .symbol:         _ZN4vllm18act_and_mul_kernelIN3c108BFloat16E15__hip_bfloat162TnPFT_RKS4_EXadL_ZNS_11gelu_kernelIS2_EES4_S6_EETnPFT0_RKSA_EXadL_ZNS_18packed_gelu_kernelIS3_EES4_S6_EELb1ELb1ELb0ELb0EEEvPS4_PS5_if.kd
    .uniform_work_group_size: 1
    .uses_dynamic_stack: false
    .vgpr_count:     30
    .vgpr_spill_count: 0
    .wavefront_size: 64
  - .agpr_count:     0
    .args:
      - .actual_access:  write_only
        .address_space:  global
        .offset:         0
        .size:           8
        .value_kind:     global_buffer
      - .actual_access:  read_only
        .address_space:  global
        .offset:         8
        .size:           8
        .value_kind:     global_buffer
      - .offset:         16
        .size:           4
        .value_kind:     by_value
      - .offset:         20
        .size:           4
        .value_kind:     by_value
      - .offset:         24
        .size:           4
        .value_kind:     hidden_block_count_x
      - .offset:         28
        .size:           4
        .value_kind:     hidden_block_count_y
      - .offset:         32
        .size:           4
        .value_kind:     hidden_block_count_z
      - .offset:         36
        .size:           2
        .value_kind:     hidden_group_size_x
      - .offset:         38
        .size:           2
        .value_kind:     hidden_group_size_y
      - .offset:         40
        .size:           2
        .value_kind:     hidden_group_size_z
      - .offset:         42
        .size:           2
        .value_kind:     hidden_remainder_x
      - .offset:         44
        .size:           2
        .value_kind:     hidden_remainder_y
      - .offset:         46
        .size:           2
        .value_kind:     hidden_remainder_z
      - .offset:         64
        .size:           8
        .value_kind:     hidden_global_offset_x
      - .offset:         72
        .size:           8
        .value_kind:     hidden_global_offset_y
      - .offset:         80
        .size:           8
        .value_kind:     hidden_global_offset_z
      - .offset:         88
        .size:           2
        .value_kind:     hidden_grid_dims
    .group_segment_fixed_size: 0
    .kernarg_segment_align: 8
    .kernarg_segment_size: 280
    .language:       OpenCL C
    .language_version:
      - 2
      - 0
    .max_flat_workgroup_size: 1024
    .name:           _ZN4vllm18act_and_mul_kernelIf15HIP_vector_typeIfLj2EETnPFT_RKS3_EXadL_ZNS_11gelu_kernelIfEES3_S5_EETnPFT0_RKS9_EXadL_ZNS_18packed_gelu_kernelIS2_EES3_S5_EELb1ELb0ELb0ELb0EEEvPS3_PS4_if
    .private_segment_fixed_size: 0
    .sgpr_count:     48
    .sgpr_spill_count: 0
    .symbol:         _ZN4vllm18act_and_mul_kernelIf15HIP_vector_typeIfLj2EETnPFT_RKS3_EXadL_ZNS_11gelu_kernelIfEES3_S5_EETnPFT0_RKS9_EXadL_ZNS_18packed_gelu_kernelIS2_EES3_S5_EELb1ELb0ELb0ELb0EEEvPS3_PS4_if.kd
    .uniform_work_group_size: 1
    .uses_dynamic_stack: false
    .vgpr_count:     35
    .vgpr_spill_count: 0
    .wavefront_size: 64
  - .agpr_count:     0
    .args:
      - .actual_access:  write_only
        .address_space:  global
        .offset:         0
        .size:           8
        .value_kind:     global_buffer
      - .actual_access:  read_only
        .address_space:  global
        .offset:         8
        .size:           8
        .value_kind:     global_buffer
      - .offset:         16
        .size:           4
        .value_kind:     by_value
      - .offset:         20
        .size:           4
        .value_kind:     by_value
      - .offset:         24
        .size:           4
        .value_kind:     hidden_block_count_x
      - .offset:         28
        .size:           4
        .value_kind:     hidden_block_count_y
      - .offset:         32
        .size:           4
        .value_kind:     hidden_block_count_z
      - .offset:         36
        .size:           2
        .value_kind:     hidden_group_size_x
      - .offset:         38
        .size:           2
        .value_kind:     hidden_group_size_y
      - .offset:         40
        .size:           2
        .value_kind:     hidden_group_size_z
      - .offset:         42
        .size:           2
        .value_kind:     hidden_remainder_x
      - .offset:         44
        .size:           2
        .value_kind:     hidden_remainder_y
      - .offset:         46
        .size:           2
        .value_kind:     hidden_remainder_z
      - .offset:         64
        .size:           8
        .value_kind:     hidden_global_offset_x
      - .offset:         72
        .size:           8
        .value_kind:     hidden_global_offset_y
      - .offset:         80
        .size:           8
        .value_kind:     hidden_global_offset_z
      - .offset:         88
        .size:           2
        .value_kind:     hidden_grid_dims
    .group_segment_fixed_size: 0
    .kernarg_segment_align: 8
    .kernarg_segment_size: 280
    .language:       OpenCL C
    .language_version:
      - 2
      - 0
    .max_flat_workgroup_size: 1024
    .name:           _ZN4vllm18act_and_mul_kernelIN3c104HalfE7__half2TnPFT_RKS4_EXadL_ZNS_11gelu_kernelIS2_EES4_S6_EETnPFT0_RKSA_EXadL_ZNS_18packed_gelu_kernelIS3_EES4_S6_EELb1ELb0ELb0ELb0EEEvPS4_PS5_if
    .private_segment_fixed_size: 0
    .sgpr_count:     54
    .sgpr_spill_count: 0
    .symbol:         _ZN4vllm18act_and_mul_kernelIN3c104HalfE7__half2TnPFT_RKS4_EXadL_ZNS_11gelu_kernelIS2_EES4_S6_EETnPFT0_RKSA_EXadL_ZNS_18packed_gelu_kernelIS3_EES4_S6_EELb1ELb0ELb0ELb0EEEvPS4_PS5_if.kd
    .uniform_work_group_size: 1
    .uses_dynamic_stack: false
    .vgpr_count:     51
    .vgpr_spill_count: 0
    .wavefront_size: 64
  - .agpr_count:     0
    .args:
      - .actual_access:  write_only
        .address_space:  global
        .offset:         0
        .size:           8
        .value_kind:     global_buffer
      - .actual_access:  read_only
        .address_space:  global
        .offset:         8
        .size:           8
        .value_kind:     global_buffer
      - .offset:         16
        .size:           4
        .value_kind:     by_value
      - .offset:         20
        .size:           4
        .value_kind:     by_value
      - .offset:         24
        .size:           4
        .value_kind:     hidden_block_count_x
      - .offset:         28
        .size:           4
        .value_kind:     hidden_block_count_y
      - .offset:         32
        .size:           4
        .value_kind:     hidden_block_count_z
      - .offset:         36
        .size:           2
        .value_kind:     hidden_group_size_x
      - .offset:         38
        .size:           2
        .value_kind:     hidden_group_size_y
      - .offset:         40
        .size:           2
        .value_kind:     hidden_group_size_z
      - .offset:         42
        .size:           2
        .value_kind:     hidden_remainder_x
      - .offset:         44
        .size:           2
        .value_kind:     hidden_remainder_y
      - .offset:         46
        .size:           2
        .value_kind:     hidden_remainder_z
      - .offset:         64
        .size:           8
        .value_kind:     hidden_global_offset_x
      - .offset:         72
        .size:           8
        .value_kind:     hidden_global_offset_y
      - .offset:         80
        .size:           8
        .value_kind:     hidden_global_offset_z
      - .offset:         88
        .size:           2
        .value_kind:     hidden_grid_dims
    .group_segment_fixed_size: 0
    .kernarg_segment_align: 8
    .kernarg_segment_size: 280
    .language:       OpenCL C
    .language_version:
      - 2
      - 0
    .max_flat_workgroup_size: 1024
    .name:           _ZN4vllm18act_and_mul_kernelIN3c108BFloat16E15__hip_bfloat162TnPFT_RKS4_EXadL_ZNS_11gelu_kernelIS2_EES4_S6_EETnPFT0_RKSA_EXadL_ZNS_18packed_gelu_kernelIS3_EES4_S6_EELb1ELb0ELb0ELb0EEEvPS4_PS5_if
    .private_segment_fixed_size: 0
    .sgpr_count:     52
    .sgpr_spill_count: 0
    .symbol:         _ZN4vllm18act_and_mul_kernelIN3c108BFloat16E15__hip_bfloat162TnPFT_RKS4_EXadL_ZNS_11gelu_kernelIS2_EES4_S6_EETnPFT0_RKSA_EXadL_ZNS_18packed_gelu_kernelIS3_EES4_S6_EELb1ELb0ELb0ELb0EEEvPS4_PS5_if.kd
    .uniform_work_group_size: 1
    .uses_dynamic_stack: false
    .vgpr_count:     55
    .vgpr_spill_count: 0
    .wavefront_size: 64
  - .agpr_count:     0
    .args:
      - .actual_access:  read_only
        .address_space:  global
        .offset:         0
        .size:           8
        .value_kind:     global_buffer
      - .actual_access:  read_only
        .address_space:  global
        .offset:         8
        .size:           8
        .value_kind:     global_buffer
      - .offset:         16
        .size:           4
        .value_kind:     by_value
      - .offset:         20
        .size:           4
        .value_kind:     by_value
      - .offset:         24
        .size:           4
        .value_kind:     hidden_block_count_x
      - .offset:         28
        .size:           4
        .value_kind:     hidden_block_count_y
      - .offset:         32
        .size:           4
        .value_kind:     hidden_block_count_z
      - .offset:         36
        .size:           2
        .value_kind:     hidden_group_size_x
      - .offset:         38
        .size:           2
        .value_kind:     hidden_group_size_y
      - .offset:         40
        .size:           2
        .value_kind:     hidden_group_size_z
      - .offset:         42
        .size:           2
        .value_kind:     hidden_remainder_x
      - .offset:         44
        .size:           2
        .value_kind:     hidden_remainder_y
      - .offset:         46
        .size:           2
        .value_kind:     hidden_remainder_z
      - .offset:         64
        .size:           8
        .value_kind:     hidden_global_offset_x
      - .offset:         72
        .size:           8
        .value_kind:     hidden_global_offset_y
      - .offset:         80
        .size:           8
        .value_kind:     hidden_global_offset_z
      - .offset:         88
        .size:           2
        .value_kind:     hidden_grid_dims
      - .offset:         104
        .size:           8
        .value_kind:     hidden_hostcall_buffer
    .group_segment_fixed_size: 0
    .kernarg_segment_align: 8
    .kernarg_segment_size: 280
    .language:       OpenCL C
    .language_version:
      - 2
      - 0
    .max_flat_workgroup_size: 1024
    .name:           _ZN4vllm18act_and_mul_kernelIf15HIP_vector_typeIfLj2EETnPFT_RKS3_EXadL_ZNS_16gelu_tanh_kernelIfEES3_S5_EETnPFT0_RKS9_EXadL_ZNS_23packed_gelu_tanh_kernelIS2_EES3_S5_EELb1ELb1ELb0ELb1EEEvPS3_PS4_if
    .private_segment_fixed_size: 64
    .sgpr_count:     40
    .sgpr_spill_count: 0
    .symbol:         _ZN4vllm18act_and_mul_kernelIf15HIP_vector_typeIfLj2EETnPFT_RKS3_EXadL_ZNS_16gelu_tanh_kernelIfEES3_S5_EETnPFT0_RKS9_EXadL_ZNS_23packed_gelu_tanh_kernelIS2_EES3_S5_EELb1ELb1ELb0ELb1EEEvPS3_PS4_if.kd
    .uniform_work_group_size: 1
    .uses_dynamic_stack: false
    .vgpr_count:     51
    .vgpr_spill_count: 0
    .wavefront_size: 64
  - .agpr_count:     0
    .args:
      - .actual_access:  read_only
        .address_space:  global
        .offset:         0
        .size:           8
        .value_kind:     global_buffer
      - .actual_access:  read_only
        .address_space:  global
        .offset:         8
        .size:           8
        .value_kind:     global_buffer
      - .offset:         16
        .size:           4
        .value_kind:     by_value
      - .offset:         20
        .size:           4
        .value_kind:     by_value
      - .offset:         24
        .size:           4
        .value_kind:     hidden_block_count_x
      - .offset:         28
        .size:           4
        .value_kind:     hidden_block_count_y
      - .offset:         32
        .size:           4
        .value_kind:     hidden_block_count_z
      - .offset:         36
        .size:           2
        .value_kind:     hidden_group_size_x
      - .offset:         38
        .size:           2
        .value_kind:     hidden_group_size_y
      - .offset:         40
        .size:           2
        .value_kind:     hidden_group_size_z
      - .offset:         42
        .size:           2
        .value_kind:     hidden_remainder_x
      - .offset:         44
        .size:           2
        .value_kind:     hidden_remainder_y
      - .offset:         46
        .size:           2
        .value_kind:     hidden_remainder_z
      - .offset:         64
        .size:           8
        .value_kind:     hidden_global_offset_x
      - .offset:         72
        .size:           8
        .value_kind:     hidden_global_offset_y
      - .offset:         80
        .size:           8
        .value_kind:     hidden_global_offset_z
      - .offset:         88
        .size:           2
        .value_kind:     hidden_grid_dims
      - .offset:         104
        .size:           8
        .value_kind:     hidden_hostcall_buffer
    .group_segment_fixed_size: 0
    .kernarg_segment_align: 8
    .kernarg_segment_size: 280
    .language:       OpenCL C
    .language_version:
      - 2
      - 0
    .max_flat_workgroup_size: 1024
    .name:           _ZN4vllm18act_and_mul_kernelIN3c104HalfE7__half2TnPFT_RKS4_EXadL_ZNS_16gelu_tanh_kernelIS2_EES4_S6_EETnPFT0_RKSA_EXadL_ZNS_23packed_gelu_tanh_kernelIS3_EES4_S6_EELb1ELb1ELb0ELb1EEEvPS4_PS5_if
    .private_segment_fixed_size: 64
    .sgpr_count:     40
    .sgpr_spill_count: 0
    .symbol:         _ZN4vllm18act_and_mul_kernelIN3c104HalfE7__half2TnPFT_RKS4_EXadL_ZNS_16gelu_tanh_kernelIS2_EES4_S6_EETnPFT0_RKSA_EXadL_ZNS_23packed_gelu_tanh_kernelIS3_EES4_S6_EELb1ELb1ELb0ELb1EEEvPS4_PS5_if.kd
    .uniform_work_group_size: 1
    .uses_dynamic_stack: false
    .vgpr_count:     51
    .vgpr_spill_count: 0
    .wavefront_size: 64
  - .agpr_count:     0
    .args:
      - .actual_access:  read_only
        .address_space:  global
        .offset:         0
        .size:           8
        .value_kind:     global_buffer
      - .actual_access:  read_only
        .address_space:  global
        .offset:         8
        .size:           8
        .value_kind:     global_buffer
      - .offset:         16
        .size:           4
        .value_kind:     by_value
      - .offset:         20
        .size:           4
        .value_kind:     by_value
      - .offset:         24
        .size:           4
        .value_kind:     hidden_block_count_x
      - .offset:         28
        .size:           4
        .value_kind:     hidden_block_count_y
      - .offset:         32
        .size:           4
        .value_kind:     hidden_block_count_z
      - .offset:         36
        .size:           2
        .value_kind:     hidden_group_size_x
      - .offset:         38
        .size:           2
        .value_kind:     hidden_group_size_y
      - .offset:         40
        .size:           2
        .value_kind:     hidden_group_size_z
      - .offset:         42
        .size:           2
        .value_kind:     hidden_remainder_x
      - .offset:         44
        .size:           2
        .value_kind:     hidden_remainder_y
      - .offset:         46
        .size:           2
        .value_kind:     hidden_remainder_z
      - .offset:         64
        .size:           8
        .value_kind:     hidden_global_offset_x
      - .offset:         72
        .size:           8
        .value_kind:     hidden_global_offset_y
      - .offset:         80
        .size:           8
        .value_kind:     hidden_global_offset_z
      - .offset:         88
        .size:           2
        .value_kind:     hidden_grid_dims
      - .offset:         104
        .size:           8
        .value_kind:     hidden_hostcall_buffer
    .group_segment_fixed_size: 0
    .kernarg_segment_align: 8
    .kernarg_segment_size: 280
    .language:       OpenCL C
    .language_version:
      - 2
      - 0
    .max_flat_workgroup_size: 1024
    .name:           _ZN4vllm18act_and_mul_kernelIN3c108BFloat16E15__hip_bfloat162TnPFT_RKS4_EXadL_ZNS_16gelu_tanh_kernelIS2_EES4_S6_EETnPFT0_RKSA_EXadL_ZNS_23packed_gelu_tanh_kernelIS3_EES4_S6_EELb1ELb1ELb0ELb1EEEvPS4_PS5_if
    .private_segment_fixed_size: 64
    .sgpr_count:     40
    .sgpr_spill_count: 0
    .symbol:         _ZN4vllm18act_and_mul_kernelIN3c108BFloat16E15__hip_bfloat162TnPFT_RKS4_EXadL_ZNS_16gelu_tanh_kernelIS2_EES4_S6_EETnPFT0_RKSA_EXadL_ZNS_23packed_gelu_tanh_kernelIS3_EES4_S6_EELb1ELb1ELb0ELb1EEEvPS4_PS5_if.kd
    .uniform_work_group_size: 1
    .uses_dynamic_stack: false
    .vgpr_count:     51
    .vgpr_spill_count: 0
    .wavefront_size: 64
  - .agpr_count:     0
    .args:
      - .actual_access:  write_only
        .address_space:  global
        .offset:         0
        .size:           8
        .value_kind:     global_buffer
      - .actual_access:  read_only
        .address_space:  global
        .offset:         8
        .size:           8
        .value_kind:     global_buffer
      - .offset:         16
        .size:           4
        .value_kind:     by_value
      - .offset:         20
        .size:           4
        .value_kind:     by_value
      - .offset:         24
        .size:           4
        .value_kind:     hidden_block_count_x
      - .offset:         28
        .size:           4
        .value_kind:     hidden_block_count_y
      - .offset:         32
        .size:           4
        .value_kind:     hidden_block_count_z
      - .offset:         36
        .size:           2
        .value_kind:     hidden_group_size_x
      - .offset:         38
        .size:           2
        .value_kind:     hidden_group_size_y
      - .offset:         40
        .size:           2
        .value_kind:     hidden_group_size_z
      - .offset:         42
        .size:           2
        .value_kind:     hidden_remainder_x
      - .offset:         44
        .size:           2
        .value_kind:     hidden_remainder_y
      - .offset:         46
        .size:           2
        .value_kind:     hidden_remainder_z
      - .offset:         64
        .size:           8
        .value_kind:     hidden_global_offset_x
      - .offset:         72
        .size:           8
        .value_kind:     hidden_global_offset_y
      - .offset:         80
        .size:           8
        .value_kind:     hidden_global_offset_z
      - .offset:         88
        .size:           2
        .value_kind:     hidden_grid_dims
    .group_segment_fixed_size: 0
    .kernarg_segment_align: 8
    .kernarg_segment_size: 280
    .language:       OpenCL C
    .language_version:
      - 2
      - 0
    .max_flat_workgroup_size: 1024
    .name:           _ZN4vllm18act_and_mul_kernelIf15HIP_vector_typeIfLj2EETnPFT_RKS3_EXadL_ZNS_16gelu_tanh_kernelIfEES3_S5_EETnPFT0_RKS9_EXadL_ZNS_23packed_gelu_tanh_kernelIS2_EES3_S5_EELb1ELb1ELb0ELb0EEEvPS3_PS4_if
    .private_segment_fixed_size: 0
    .sgpr_count:     20
    .sgpr_spill_count: 0
    .symbol:         _ZN4vllm18act_and_mul_kernelIf15HIP_vector_typeIfLj2EETnPFT_RKS3_EXadL_ZNS_16gelu_tanh_kernelIfEES3_S5_EETnPFT0_RKS9_EXadL_ZNS_23packed_gelu_tanh_kernelIS2_EES3_S5_EELb1ELb1ELb0ELb0EEEvPS3_PS4_if.kd
    .uniform_work_group_size: 1
    .uses_dynamic_stack: false
    .vgpr_count:     30
    .vgpr_spill_count: 0
    .wavefront_size: 64
  - .agpr_count:     0
    .args:
      - .actual_access:  write_only
        .address_space:  global
        .offset:         0
        .size:           8
        .value_kind:     global_buffer
      - .actual_access:  read_only
        .address_space:  global
        .offset:         8
        .size:           8
        .value_kind:     global_buffer
      - .offset:         16
        .size:           4
        .value_kind:     by_value
      - .offset:         20
        .size:           4
        .value_kind:     by_value
      - .offset:         24
        .size:           4
        .value_kind:     hidden_block_count_x
      - .offset:         28
        .size:           4
        .value_kind:     hidden_block_count_y
      - .offset:         32
        .size:           4
        .value_kind:     hidden_block_count_z
      - .offset:         36
        .size:           2
        .value_kind:     hidden_group_size_x
      - .offset:         38
        .size:           2
        .value_kind:     hidden_group_size_y
      - .offset:         40
        .size:           2
        .value_kind:     hidden_group_size_z
      - .offset:         42
        .size:           2
        .value_kind:     hidden_remainder_x
      - .offset:         44
        .size:           2
        .value_kind:     hidden_remainder_y
      - .offset:         46
        .size:           2
        .value_kind:     hidden_remainder_z
      - .offset:         64
        .size:           8
        .value_kind:     hidden_global_offset_x
      - .offset:         72
        .size:           8
        .value_kind:     hidden_global_offset_y
      - .offset:         80
        .size:           8
        .value_kind:     hidden_global_offset_z
      - .offset:         88
        .size:           2
        .value_kind:     hidden_grid_dims
    .group_segment_fixed_size: 0
    .kernarg_segment_align: 8
    .kernarg_segment_size: 280
    .language:       OpenCL C
    .language_version:
      - 2
      - 0
    .max_flat_workgroup_size: 1024
    .name:           _ZN4vllm18act_and_mul_kernelIN3c104HalfE7__half2TnPFT_RKS4_EXadL_ZNS_16gelu_tanh_kernelIS2_EES4_S6_EETnPFT0_RKSA_EXadL_ZNS_23packed_gelu_tanh_kernelIS3_EES4_S6_EELb1ELb1ELb0ELb0EEEvPS4_PS5_if
    .private_segment_fixed_size: 0
    .sgpr_count:     22
    .sgpr_spill_count: 0
    .symbol:         _ZN4vllm18act_and_mul_kernelIN3c104HalfE7__half2TnPFT_RKS4_EXadL_ZNS_16gelu_tanh_kernelIS2_EES4_S6_EETnPFT0_RKSA_EXadL_ZNS_23packed_gelu_tanh_kernelIS3_EES4_S6_EELb1ELb1ELb0ELb0EEEvPS4_PS5_if.kd
    .uniform_work_group_size: 1
    .uses_dynamic_stack: false
    .vgpr_count:     42
    .vgpr_spill_count: 0
    .wavefront_size: 64
  - .agpr_count:     0
    .args:
      - .actual_access:  write_only
        .address_space:  global
        .offset:         0
        .size:           8
        .value_kind:     global_buffer
      - .actual_access:  read_only
        .address_space:  global
        .offset:         8
        .size:           8
        .value_kind:     global_buffer
      - .offset:         16
        .size:           4
        .value_kind:     by_value
      - .offset:         20
        .size:           4
        .value_kind:     by_value
      - .offset:         24
        .size:           4
        .value_kind:     hidden_block_count_x
      - .offset:         28
        .size:           4
        .value_kind:     hidden_block_count_y
      - .offset:         32
        .size:           4
        .value_kind:     hidden_block_count_z
      - .offset:         36
        .size:           2
        .value_kind:     hidden_group_size_x
      - .offset:         38
        .size:           2
        .value_kind:     hidden_group_size_y
      - .offset:         40
        .size:           2
        .value_kind:     hidden_group_size_z
      - .offset:         42
        .size:           2
        .value_kind:     hidden_remainder_x
      - .offset:         44
        .size:           2
        .value_kind:     hidden_remainder_y
      - .offset:         46
        .size:           2
        .value_kind:     hidden_remainder_z
      - .offset:         64
        .size:           8
        .value_kind:     hidden_global_offset_x
      - .offset:         72
        .size:           8
        .value_kind:     hidden_global_offset_y
      - .offset:         80
        .size:           8
        .value_kind:     hidden_global_offset_z
      - .offset:         88
        .size:           2
        .value_kind:     hidden_grid_dims
    .group_segment_fixed_size: 0
    .kernarg_segment_align: 8
    .kernarg_segment_size: 280
    .language:       OpenCL C
    .language_version:
      - 2
      - 0
    .max_flat_workgroup_size: 1024
    .name:           _ZN4vllm18act_and_mul_kernelIN3c108BFloat16E15__hip_bfloat162TnPFT_RKS4_EXadL_ZNS_16gelu_tanh_kernelIS2_EES4_S6_EETnPFT0_RKSA_EXadL_ZNS_23packed_gelu_tanh_kernelIS3_EES4_S6_EELb1ELb1ELb0ELb0EEEvPS4_PS5_if
    .private_segment_fixed_size: 0
    .sgpr_count:     24
    .sgpr_spill_count: 0
    .symbol:         _ZN4vllm18act_and_mul_kernelIN3c108BFloat16E15__hip_bfloat162TnPFT_RKS4_EXadL_ZNS_16gelu_tanh_kernelIS2_EES4_S6_EETnPFT0_RKSA_EXadL_ZNS_23packed_gelu_tanh_kernelIS3_EES4_S6_EELb1ELb1ELb0ELb0EEEvPS4_PS5_if.kd
    .uniform_work_group_size: 1
    .uses_dynamic_stack: false
    .vgpr_count:     28
    .vgpr_spill_count: 0
    .wavefront_size: 64
  - .agpr_count:     0
    .args:
      - .actual_access:  write_only
        .address_space:  global
        .offset:         0
        .size:           8
        .value_kind:     global_buffer
      - .actual_access:  read_only
        .address_space:  global
        .offset:         8
        .size:           8
        .value_kind:     global_buffer
      - .offset:         16
        .size:           4
        .value_kind:     by_value
      - .offset:         20
        .size:           4
        .value_kind:     by_value
      - .offset:         24
        .size:           4
        .value_kind:     hidden_block_count_x
      - .offset:         28
        .size:           4
        .value_kind:     hidden_block_count_y
      - .offset:         32
        .size:           4
        .value_kind:     hidden_block_count_z
      - .offset:         36
        .size:           2
        .value_kind:     hidden_group_size_x
      - .offset:         38
        .size:           2
        .value_kind:     hidden_group_size_y
      - .offset:         40
        .size:           2
        .value_kind:     hidden_group_size_z
      - .offset:         42
        .size:           2
        .value_kind:     hidden_remainder_x
      - .offset:         44
        .size:           2
        .value_kind:     hidden_remainder_y
      - .offset:         46
        .size:           2
        .value_kind:     hidden_remainder_z
      - .offset:         64
        .size:           8
        .value_kind:     hidden_global_offset_x
      - .offset:         72
        .size:           8
        .value_kind:     hidden_global_offset_y
      - .offset:         80
        .size:           8
        .value_kind:     hidden_global_offset_z
      - .offset:         88
        .size:           2
        .value_kind:     hidden_grid_dims
    .group_segment_fixed_size: 0
    .kernarg_segment_align: 8
    .kernarg_segment_size: 280
    .language:       OpenCL C
    .language_version:
      - 2
      - 0
    .max_flat_workgroup_size: 1024
    .name:           _ZN4vllm18act_and_mul_kernelIf15HIP_vector_typeIfLj2EETnPFT_RKS3_EXadL_ZNS_16gelu_tanh_kernelIfEES3_S5_EETnPFT0_RKS9_EXadL_ZNS_23packed_gelu_tanh_kernelIS2_EES3_S5_EELb1ELb0ELb0ELb0EEEvPS3_PS4_if
    .private_segment_fixed_size: 0
    .sgpr_count:     22
    .sgpr_spill_count: 0
    .symbol:         _ZN4vllm18act_and_mul_kernelIf15HIP_vector_typeIfLj2EETnPFT_RKS3_EXadL_ZNS_16gelu_tanh_kernelIfEES3_S5_EETnPFT0_RKS9_EXadL_ZNS_23packed_gelu_tanh_kernelIS2_EES3_S5_EELb1ELb0ELb0ELb0EEEvPS3_PS4_if.kd
    .uniform_work_group_size: 1
    .uses_dynamic_stack: false
    .vgpr_count:     20
    .vgpr_spill_count: 0
    .wavefront_size: 64
  - .agpr_count:     0
    .args:
      - .actual_access:  write_only
        .address_space:  global
        .offset:         0
        .size:           8
        .value_kind:     global_buffer
      - .actual_access:  read_only
        .address_space:  global
        .offset:         8
        .size:           8
        .value_kind:     global_buffer
      - .offset:         16
        .size:           4
        .value_kind:     by_value
      - .offset:         20
        .size:           4
        .value_kind:     by_value
      - .offset:         24
        .size:           4
        .value_kind:     hidden_block_count_x
      - .offset:         28
        .size:           4
        .value_kind:     hidden_block_count_y
      - .offset:         32
        .size:           4
        .value_kind:     hidden_block_count_z
      - .offset:         36
        .size:           2
        .value_kind:     hidden_group_size_x
      - .offset:         38
        .size:           2
        .value_kind:     hidden_group_size_y
      - .offset:         40
        .size:           2
        .value_kind:     hidden_group_size_z
      - .offset:         42
        .size:           2
        .value_kind:     hidden_remainder_x
      - .offset:         44
        .size:           2
        .value_kind:     hidden_remainder_y
      - .offset:         46
        .size:           2
        .value_kind:     hidden_remainder_z
      - .offset:         64
        .size:           8
        .value_kind:     hidden_global_offset_x
      - .offset:         72
        .size:           8
        .value_kind:     hidden_global_offset_y
      - .offset:         80
        .size:           8
        .value_kind:     hidden_global_offset_z
      - .offset:         88
        .size:           2
        .value_kind:     hidden_grid_dims
    .group_segment_fixed_size: 0
    .kernarg_segment_align: 8
    .kernarg_segment_size: 280
    .language:       OpenCL C
    .language_version:
      - 2
      - 0
    .max_flat_workgroup_size: 1024
    .name:           _ZN4vllm18act_and_mul_kernelIN3c104HalfE7__half2TnPFT_RKS4_EXadL_ZNS_16gelu_tanh_kernelIS2_EES4_S6_EETnPFT0_RKSA_EXadL_ZNS_23packed_gelu_tanh_kernelIS3_EES4_S6_EELb1ELb0ELb0ELb0EEEvPS4_PS5_if
    .private_segment_fixed_size: 0
    .sgpr_count:     24
    .sgpr_spill_count: 0
    .symbol:         _ZN4vllm18act_and_mul_kernelIN3c104HalfE7__half2TnPFT_RKS4_EXadL_ZNS_16gelu_tanh_kernelIS2_EES4_S6_EETnPFT0_RKSA_EXadL_ZNS_23packed_gelu_tanh_kernelIS3_EES4_S6_EELb1ELb0ELb0ELb0EEEvPS4_PS5_if.kd
    .uniform_work_group_size: 1
    .uses_dynamic_stack: false
    .vgpr_count:     20
    .vgpr_spill_count: 0
    .wavefront_size: 64
  - .agpr_count:     0
    .args:
      - .actual_access:  write_only
        .address_space:  global
        .offset:         0
        .size:           8
        .value_kind:     global_buffer
      - .actual_access:  read_only
        .address_space:  global
        .offset:         8
        .size:           8
        .value_kind:     global_buffer
      - .offset:         16
        .size:           4
        .value_kind:     by_value
      - .offset:         20
        .size:           4
        .value_kind:     by_value
      - .offset:         24
        .size:           4
        .value_kind:     hidden_block_count_x
      - .offset:         28
        .size:           4
        .value_kind:     hidden_block_count_y
      - .offset:         32
        .size:           4
        .value_kind:     hidden_block_count_z
      - .offset:         36
        .size:           2
        .value_kind:     hidden_group_size_x
      - .offset:         38
        .size:           2
        .value_kind:     hidden_group_size_y
      - .offset:         40
        .size:           2
        .value_kind:     hidden_group_size_z
      - .offset:         42
        .size:           2
        .value_kind:     hidden_remainder_x
      - .offset:         44
        .size:           2
        .value_kind:     hidden_remainder_y
      - .offset:         46
        .size:           2
        .value_kind:     hidden_remainder_z
      - .offset:         64
        .size:           8
        .value_kind:     hidden_global_offset_x
      - .offset:         72
        .size:           8
        .value_kind:     hidden_global_offset_y
      - .offset:         80
        .size:           8
        .value_kind:     hidden_global_offset_z
      - .offset:         88
        .size:           2
        .value_kind:     hidden_grid_dims
    .group_segment_fixed_size: 0
    .kernarg_segment_align: 8
    .kernarg_segment_size: 280
    .language:       OpenCL C
    .language_version:
      - 2
      - 0
    .max_flat_workgroup_size: 1024
    .name:           _ZN4vllm18act_and_mul_kernelIN3c108BFloat16E15__hip_bfloat162TnPFT_RKS4_EXadL_ZNS_16gelu_tanh_kernelIS2_EES4_S6_EETnPFT0_RKSA_EXadL_ZNS_23packed_gelu_tanh_kernelIS3_EES4_S6_EELb1ELb0ELb0ELb0EEEvPS4_PS5_if
    .private_segment_fixed_size: 0
    .sgpr_count:     24
    .sgpr_spill_count: 0
    .symbol:         _ZN4vllm18act_and_mul_kernelIN3c108BFloat16E15__hip_bfloat162TnPFT_RKS4_EXadL_ZNS_16gelu_tanh_kernelIS2_EES4_S6_EETnPFT0_RKSA_EXadL_ZNS_23packed_gelu_tanh_kernelIS3_EES4_S6_EELb1ELb0ELb0ELb0EEEvPS4_PS5_if.kd
    .uniform_work_group_size: 1
    .uses_dynamic_stack: false
    .vgpr_count:     22
    .vgpr_spill_count: 0
    .wavefront_size: 64
  - .agpr_count:     0
    .args:
      - .actual_access:  read_only
        .address_space:  global
        .offset:         0
        .size:           8
        .value_kind:     global_buffer
      - .actual_access:  read_only
        .address_space:  global
        .offset:         8
        .size:           8
        .value_kind:     global_buffer
      - .offset:         16
        .size:           4
        .value_kind:     by_value
      - .offset:         20
        .size:           4
        .value_kind:     by_value
      - .offset:         24
        .size:           4
        .value_kind:     hidden_block_count_x
      - .offset:         28
        .size:           4
        .value_kind:     hidden_block_count_y
      - .offset:         32
        .size:           4
        .value_kind:     hidden_block_count_z
      - .offset:         36
        .size:           2
        .value_kind:     hidden_group_size_x
      - .offset:         38
        .size:           2
        .value_kind:     hidden_group_size_y
      - .offset:         40
        .size:           2
        .value_kind:     hidden_group_size_z
      - .offset:         42
        .size:           2
        .value_kind:     hidden_remainder_x
      - .offset:         44
        .size:           2
        .value_kind:     hidden_remainder_y
      - .offset:         46
        .size:           2
        .value_kind:     hidden_remainder_z
      - .offset:         64
        .size:           8
        .value_kind:     hidden_global_offset_x
      - .offset:         72
        .size:           8
        .value_kind:     hidden_global_offset_y
      - .offset:         80
        .size:           8
        .value_kind:     hidden_global_offset_z
      - .offset:         88
        .size:           2
        .value_kind:     hidden_grid_dims
      - .offset:         104
        .size:           8
        .value_kind:     hidden_hostcall_buffer
    .group_segment_fixed_size: 0
    .kernarg_segment_align: 8
    .kernarg_segment_size: 280
    .language:       OpenCL C
    .language_version:
      - 2
      - 0
    .max_flat_workgroup_size: 1024
    .name:           _ZN4vllm29act_and_mul_kernel_with_paramIf15HIP_vector_typeIfLj2EETnPFT_RKS3_fEXadL_ZNS_14fatrelu_kernelIfEES3_S5_fEETnPFT0_RKS9_fEXadL_ZNS_21packed_fatrelu_kernelIS2_EES3_S5_fEELb1ELb1EEEvPS3_PS4_if
    .private_segment_fixed_size: 64
    .sgpr_count:     40
    .sgpr_spill_count: 0
    .symbol:         _ZN4vllm29act_and_mul_kernel_with_paramIf15HIP_vector_typeIfLj2EETnPFT_RKS3_fEXadL_ZNS_14fatrelu_kernelIfEES3_S5_fEETnPFT0_RKS9_fEXadL_ZNS_21packed_fatrelu_kernelIS2_EES3_S5_fEELb1ELb1EEEvPS3_PS4_if.kd
    .uniform_work_group_size: 1
    .uses_dynamic_stack: false
    .vgpr_count:     51
    .vgpr_spill_count: 0
    .wavefront_size: 64
  - .agpr_count:     0
    .args:
      - .actual_access:  read_only
        .address_space:  global
        .offset:         0
        .size:           8
        .value_kind:     global_buffer
      - .actual_access:  read_only
        .address_space:  global
        .offset:         8
        .size:           8
        .value_kind:     global_buffer
      - .offset:         16
        .size:           4
        .value_kind:     by_value
      - .offset:         20
        .size:           4
        .value_kind:     by_value
      - .offset:         24
        .size:           4
        .value_kind:     hidden_block_count_x
      - .offset:         28
        .size:           4
        .value_kind:     hidden_block_count_y
      - .offset:         32
        .size:           4
        .value_kind:     hidden_block_count_z
      - .offset:         36
        .size:           2
        .value_kind:     hidden_group_size_x
      - .offset:         38
        .size:           2
        .value_kind:     hidden_group_size_y
      - .offset:         40
        .size:           2
        .value_kind:     hidden_group_size_z
      - .offset:         42
        .size:           2
        .value_kind:     hidden_remainder_x
      - .offset:         44
        .size:           2
        .value_kind:     hidden_remainder_y
      - .offset:         46
        .size:           2
        .value_kind:     hidden_remainder_z
      - .offset:         64
        .size:           8
        .value_kind:     hidden_global_offset_x
      - .offset:         72
        .size:           8
        .value_kind:     hidden_global_offset_y
      - .offset:         80
        .size:           8
        .value_kind:     hidden_global_offset_z
      - .offset:         88
        .size:           2
        .value_kind:     hidden_grid_dims
      - .offset:         104
        .size:           8
        .value_kind:     hidden_hostcall_buffer
    .group_segment_fixed_size: 0
    .kernarg_segment_align: 8
    .kernarg_segment_size: 280
    .language:       OpenCL C
    .language_version:
      - 2
      - 0
    .max_flat_workgroup_size: 1024
    .name:           _ZN4vllm29act_and_mul_kernel_with_paramIN3c104HalfE7__half2TnPFT_RKS4_fEXadL_ZNS_14fatrelu_kernelIS2_EES4_S6_fEETnPFT0_RKSA_fEXadL_ZNS_21packed_fatrelu_kernelIS3_EES4_S6_fEELb1ELb1EEEvPS4_PS5_if
    .private_segment_fixed_size: 64
    .sgpr_count:     40
    .sgpr_spill_count: 0
    .symbol:         _ZN4vllm29act_and_mul_kernel_with_paramIN3c104HalfE7__half2TnPFT_RKS4_fEXadL_ZNS_14fatrelu_kernelIS2_EES4_S6_fEETnPFT0_RKSA_fEXadL_ZNS_21packed_fatrelu_kernelIS3_EES4_S6_fEELb1ELb1EEEvPS4_PS5_if.kd
    .uniform_work_group_size: 1
    .uses_dynamic_stack: false
    .vgpr_count:     51
    .vgpr_spill_count: 0
    .wavefront_size: 64
  - .agpr_count:     0
    .args:
      - .actual_access:  read_only
        .address_space:  global
        .offset:         0
        .size:           8
        .value_kind:     global_buffer
      - .actual_access:  read_only
        .address_space:  global
        .offset:         8
        .size:           8
        .value_kind:     global_buffer
      - .offset:         16
        .size:           4
        .value_kind:     by_value
      - .offset:         20
        .size:           4
        .value_kind:     by_value
      - .offset:         24
        .size:           4
        .value_kind:     hidden_block_count_x
      - .offset:         28
        .size:           4
        .value_kind:     hidden_block_count_y
      - .offset:         32
        .size:           4
        .value_kind:     hidden_block_count_z
      - .offset:         36
        .size:           2
        .value_kind:     hidden_group_size_x
      - .offset:         38
        .size:           2
        .value_kind:     hidden_group_size_y
      - .offset:         40
        .size:           2
        .value_kind:     hidden_group_size_z
      - .offset:         42
        .size:           2
        .value_kind:     hidden_remainder_x
      - .offset:         44
        .size:           2
        .value_kind:     hidden_remainder_y
      - .offset:         46
        .size:           2
        .value_kind:     hidden_remainder_z
      - .offset:         64
        .size:           8
        .value_kind:     hidden_global_offset_x
      - .offset:         72
        .size:           8
        .value_kind:     hidden_global_offset_y
      - .offset:         80
        .size:           8
        .value_kind:     hidden_global_offset_z
      - .offset:         88
        .size:           2
        .value_kind:     hidden_grid_dims
      - .offset:         104
        .size:           8
        .value_kind:     hidden_hostcall_buffer
    .group_segment_fixed_size: 0
    .kernarg_segment_align: 8
    .kernarg_segment_size: 280
    .language:       OpenCL C
    .language_version:
      - 2
      - 0
    .max_flat_workgroup_size: 1024
    .name:           _ZN4vllm29act_and_mul_kernel_with_paramIN3c108BFloat16E15__hip_bfloat162TnPFT_RKS4_fEXadL_ZNS_14fatrelu_kernelIS2_EES4_S6_fEETnPFT0_RKSA_fEXadL_ZNS_21packed_fatrelu_kernelIS3_EES4_S6_fEELb1ELb1EEEvPS4_PS5_if
    .private_segment_fixed_size: 64
    .sgpr_count:     40
    .sgpr_spill_count: 0
    .symbol:         _ZN4vllm29act_and_mul_kernel_with_paramIN3c108BFloat16E15__hip_bfloat162TnPFT_RKS4_fEXadL_ZNS_14fatrelu_kernelIS2_EES4_S6_fEETnPFT0_RKSA_fEXadL_ZNS_21packed_fatrelu_kernelIS3_EES4_S6_fEELb1ELb1EEEvPS4_PS5_if.kd
    .uniform_work_group_size: 1
    .uses_dynamic_stack: false
    .vgpr_count:     51
    .vgpr_spill_count: 0
    .wavefront_size: 64
  - .agpr_count:     0
    .args:
      - .actual_access:  write_only
        .address_space:  global
        .offset:         0
        .size:           8
        .value_kind:     global_buffer
      - .actual_access:  read_only
        .address_space:  global
        .offset:         8
        .size:           8
        .value_kind:     global_buffer
      - .offset:         16
        .size:           4
        .value_kind:     by_value
      - .offset:         20
        .size:           4
        .value_kind:     by_value
      - .offset:         24
        .size:           4
        .value_kind:     hidden_block_count_x
      - .offset:         28
        .size:           4
        .value_kind:     hidden_block_count_y
      - .offset:         32
        .size:           4
        .value_kind:     hidden_block_count_z
      - .offset:         36
        .size:           2
        .value_kind:     hidden_group_size_x
      - .offset:         38
        .size:           2
        .value_kind:     hidden_group_size_y
      - .offset:         40
        .size:           2
        .value_kind:     hidden_group_size_z
      - .offset:         42
        .size:           2
        .value_kind:     hidden_remainder_x
      - .offset:         44
        .size:           2
        .value_kind:     hidden_remainder_y
      - .offset:         46
        .size:           2
        .value_kind:     hidden_remainder_z
      - .offset:         64
        .size:           8
        .value_kind:     hidden_global_offset_x
      - .offset:         72
        .size:           8
        .value_kind:     hidden_global_offset_y
      - .offset:         80
        .size:           8
        .value_kind:     hidden_global_offset_z
      - .offset:         88
        .size:           2
        .value_kind:     hidden_grid_dims
    .group_segment_fixed_size: 0
    .kernarg_segment_align: 8
    .kernarg_segment_size: 280
    .language:       OpenCL C
    .language_version:
      - 2
      - 0
    .max_flat_workgroup_size: 1024
    .name:           _ZN4vllm29act_and_mul_kernel_with_paramIf15HIP_vector_typeIfLj2EETnPFT_RKS3_fEXadL_ZNS_14fatrelu_kernelIfEES3_S5_fEETnPFT0_RKS9_fEXadL_ZNS_21packed_fatrelu_kernelIS2_EES3_S5_fEELb1ELb0EEEvPS3_PS4_if
    .private_segment_fixed_size: 0
    .sgpr_count:     24
    .sgpr_spill_count: 0
    .symbol:         _ZN4vllm29act_and_mul_kernel_with_paramIf15HIP_vector_typeIfLj2EETnPFT_RKS3_fEXadL_ZNS_14fatrelu_kernelIfEES3_S5_fEETnPFT0_RKS9_fEXadL_ZNS_21packed_fatrelu_kernelIS2_EES3_S5_fEELb1ELb0EEEvPS3_PS4_if.kd
    .uniform_work_group_size: 1
    .uses_dynamic_stack: false
    .vgpr_count:     20
    .vgpr_spill_count: 0
    .wavefront_size: 64
  - .agpr_count:     0
    .args:
      - .actual_access:  write_only
        .address_space:  global
        .offset:         0
        .size:           8
        .value_kind:     global_buffer
      - .actual_access:  read_only
        .address_space:  global
        .offset:         8
        .size:           8
        .value_kind:     global_buffer
      - .offset:         16
        .size:           4
        .value_kind:     by_value
      - .offset:         20
        .size:           4
        .value_kind:     by_value
      - .offset:         24
        .size:           4
        .value_kind:     hidden_block_count_x
      - .offset:         28
        .size:           4
        .value_kind:     hidden_block_count_y
      - .offset:         32
        .size:           4
        .value_kind:     hidden_block_count_z
      - .offset:         36
        .size:           2
        .value_kind:     hidden_group_size_x
      - .offset:         38
        .size:           2
        .value_kind:     hidden_group_size_y
      - .offset:         40
        .size:           2
        .value_kind:     hidden_group_size_z
      - .offset:         42
        .size:           2
        .value_kind:     hidden_remainder_x
      - .offset:         44
        .size:           2
        .value_kind:     hidden_remainder_y
      - .offset:         46
        .size:           2
        .value_kind:     hidden_remainder_z
      - .offset:         64
        .size:           8
        .value_kind:     hidden_global_offset_x
      - .offset:         72
        .size:           8
        .value_kind:     hidden_global_offset_y
      - .offset:         80
        .size:           8
        .value_kind:     hidden_global_offset_z
      - .offset:         88
        .size:           2
        .value_kind:     hidden_grid_dims
    .group_segment_fixed_size: 0
    .kernarg_segment_align: 8
    .kernarg_segment_size: 280
    .language:       OpenCL C
    .language_version:
      - 2
      - 0
    .max_flat_workgroup_size: 1024
    .name:           _ZN4vllm29act_and_mul_kernel_with_paramIN3c104HalfE7__half2TnPFT_RKS4_fEXadL_ZNS_14fatrelu_kernelIS2_EES4_S6_fEETnPFT0_RKSA_fEXadL_ZNS_21packed_fatrelu_kernelIS3_EES4_S6_fEELb1ELb0EEEvPS4_PS5_if
    .private_segment_fixed_size: 0
    .sgpr_count:     20
    .sgpr_spill_count: 0
    .symbol:         _ZN4vllm29act_and_mul_kernel_with_paramIN3c104HalfE7__half2TnPFT_RKS4_fEXadL_ZNS_14fatrelu_kernelIS2_EES4_S6_fEETnPFT0_RKSA_fEXadL_ZNS_21packed_fatrelu_kernelIS3_EES4_S6_fEELb1ELb0EEEvPS4_PS5_if.kd
    .uniform_work_group_size: 1
    .uses_dynamic_stack: false
    .vgpr_count:     29
    .vgpr_spill_count: 0
    .wavefront_size: 64
  - .agpr_count:     0
    .args:
      - .actual_access:  write_only
        .address_space:  global
        .offset:         0
        .size:           8
        .value_kind:     global_buffer
      - .actual_access:  read_only
        .address_space:  global
        .offset:         8
        .size:           8
        .value_kind:     global_buffer
      - .offset:         16
        .size:           4
        .value_kind:     by_value
      - .offset:         20
        .size:           4
        .value_kind:     by_value
      - .offset:         24
        .size:           4
        .value_kind:     hidden_block_count_x
      - .offset:         28
        .size:           4
        .value_kind:     hidden_block_count_y
      - .offset:         32
        .size:           4
        .value_kind:     hidden_block_count_z
      - .offset:         36
        .size:           2
        .value_kind:     hidden_group_size_x
      - .offset:         38
        .size:           2
        .value_kind:     hidden_group_size_y
      - .offset:         40
        .size:           2
        .value_kind:     hidden_group_size_z
      - .offset:         42
        .size:           2
        .value_kind:     hidden_remainder_x
      - .offset:         44
        .size:           2
        .value_kind:     hidden_remainder_y
      - .offset:         46
        .size:           2
        .value_kind:     hidden_remainder_z
      - .offset:         64
        .size:           8
        .value_kind:     hidden_global_offset_x
      - .offset:         72
        .size:           8
        .value_kind:     hidden_global_offset_y
      - .offset:         80
        .size:           8
        .value_kind:     hidden_global_offset_z
      - .offset:         88
        .size:           2
        .value_kind:     hidden_grid_dims
    .group_segment_fixed_size: 0
    .kernarg_segment_align: 8
    .kernarg_segment_size: 280
    .language:       OpenCL C
    .language_version:
      - 2
      - 0
    .max_flat_workgroup_size: 1024
    .name:           _ZN4vllm29act_and_mul_kernel_with_paramIN3c108BFloat16E15__hip_bfloat162TnPFT_RKS4_fEXadL_ZNS_14fatrelu_kernelIS2_EES4_S6_fEETnPFT0_RKSA_fEXadL_ZNS_21packed_fatrelu_kernelIS3_EES4_S6_fEELb1ELb0EEEvPS4_PS5_if
    .private_segment_fixed_size: 0
    .sgpr_count:     20
    .sgpr_spill_count: 0
    .symbol:         _ZN4vllm29act_and_mul_kernel_with_paramIN3c108BFloat16E15__hip_bfloat162TnPFT_RKS4_fEXadL_ZNS_14fatrelu_kernelIS2_EES4_S6_fEETnPFT0_RKSA_fEXadL_ZNS_21packed_fatrelu_kernelIS3_EES4_S6_fEELb1ELb0EEEvPS4_PS5_if.kd
    .uniform_work_group_size: 1
    .uses_dynamic_stack: false
    .vgpr_count:     18
    .vgpr_spill_count: 0
    .wavefront_size: 64
  - .agpr_count:     0
    .args:
      - .actual_access:  write_only
        .address_space:  global
        .offset:         0
        .size:           8
        .value_kind:     global_buffer
      - .actual_access:  read_only
        .address_space:  global
        .offset:         8
        .size:           8
        .value_kind:     global_buffer
      - .offset:         16
        .size:           4
        .value_kind:     by_value
      - .offset:         20
        .size:           4
        .value_kind:     by_value
      - .offset:         24
        .size:           4
        .value_kind:     hidden_block_count_x
      - .offset:         28
        .size:           4
        .value_kind:     hidden_block_count_y
      - .offset:         32
        .size:           4
        .value_kind:     hidden_block_count_z
      - .offset:         36
        .size:           2
        .value_kind:     hidden_group_size_x
      - .offset:         38
        .size:           2
        .value_kind:     hidden_group_size_y
      - .offset:         40
        .size:           2
        .value_kind:     hidden_group_size_z
      - .offset:         42
        .size:           2
        .value_kind:     hidden_remainder_x
      - .offset:         44
        .size:           2
        .value_kind:     hidden_remainder_y
      - .offset:         46
        .size:           2
        .value_kind:     hidden_remainder_z
      - .offset:         64
        .size:           8
        .value_kind:     hidden_global_offset_x
      - .offset:         72
        .size:           8
        .value_kind:     hidden_global_offset_y
      - .offset:         80
        .size:           8
        .value_kind:     hidden_global_offset_z
      - .offset:         88
        .size:           2
        .value_kind:     hidden_grid_dims
    .group_segment_fixed_size: 0
    .kernarg_segment_align: 8
    .kernarg_segment_size: 280
    .language:       OpenCL C
    .language_version:
      - 2
      - 0
    .max_flat_workgroup_size: 1024
    .name:           _ZN4vllm29act_and_mul_kernel_with_paramIf15HIP_vector_typeIfLj2EETnPFT_RKS3_fEXadL_ZNS_14fatrelu_kernelIfEES3_S5_fEETnPFT0_RKS9_fEXadL_ZNS_21packed_fatrelu_kernelIS2_EES3_S5_fEELb0ELb0EEEvPS3_PS4_if
    .private_segment_fixed_size: 0
    .sgpr_count:     27
    .sgpr_spill_count: 0
    .symbol:         _ZN4vllm29act_and_mul_kernel_with_paramIf15HIP_vector_typeIfLj2EETnPFT_RKS3_fEXadL_ZNS_14fatrelu_kernelIfEES3_S5_fEETnPFT0_RKS9_fEXadL_ZNS_21packed_fatrelu_kernelIS2_EES3_S5_fEELb0ELb0EEEvPS3_PS4_if.kd
    .uniform_work_group_size: 1
    .uses_dynamic_stack: false
    .vgpr_count:     23
    .vgpr_spill_count: 0
    .wavefront_size: 64
  - .agpr_count:     0
    .args:
      - .actual_access:  write_only
        .address_space:  global
        .offset:         0
        .size:           8
        .value_kind:     global_buffer
      - .actual_access:  read_only
        .address_space:  global
        .offset:         8
        .size:           8
        .value_kind:     global_buffer
      - .offset:         16
        .size:           4
        .value_kind:     by_value
      - .offset:         20
        .size:           4
        .value_kind:     by_value
      - .offset:         24
        .size:           4
        .value_kind:     hidden_block_count_x
      - .offset:         28
        .size:           4
        .value_kind:     hidden_block_count_y
      - .offset:         32
        .size:           4
        .value_kind:     hidden_block_count_z
      - .offset:         36
        .size:           2
        .value_kind:     hidden_group_size_x
      - .offset:         38
        .size:           2
        .value_kind:     hidden_group_size_y
      - .offset:         40
        .size:           2
        .value_kind:     hidden_group_size_z
      - .offset:         42
        .size:           2
        .value_kind:     hidden_remainder_x
      - .offset:         44
        .size:           2
        .value_kind:     hidden_remainder_y
      - .offset:         46
        .size:           2
        .value_kind:     hidden_remainder_z
      - .offset:         64
        .size:           8
        .value_kind:     hidden_global_offset_x
      - .offset:         72
        .size:           8
        .value_kind:     hidden_global_offset_y
      - .offset:         80
        .size:           8
        .value_kind:     hidden_global_offset_z
      - .offset:         88
        .size:           2
        .value_kind:     hidden_grid_dims
    .group_segment_fixed_size: 0
    .kernarg_segment_align: 8
    .kernarg_segment_size: 280
    .language:       OpenCL C
    .language_version:
      - 2
      - 0
    .max_flat_workgroup_size: 1024
    .name:           _ZN4vllm29act_and_mul_kernel_with_paramIN3c104HalfE7__half2TnPFT_RKS4_fEXadL_ZNS_14fatrelu_kernelIS2_EES4_S6_fEETnPFT0_RKSA_fEXadL_ZNS_21packed_fatrelu_kernelIS3_EES4_S6_fEELb0ELb0EEEvPS4_PS5_if
    .private_segment_fixed_size: 0
    .sgpr_count:     28
    .sgpr_spill_count: 0
    .symbol:         _ZN4vllm29act_and_mul_kernel_with_paramIN3c104HalfE7__half2TnPFT_RKS4_fEXadL_ZNS_14fatrelu_kernelIS2_EES4_S6_fEETnPFT0_RKSA_fEXadL_ZNS_21packed_fatrelu_kernelIS3_EES4_S6_fEELb0ELb0EEEvPS4_PS5_if.kd
    .uniform_work_group_size: 1
    .uses_dynamic_stack: false
    .vgpr_count:     26
    .vgpr_spill_count: 0
    .wavefront_size: 64
  - .agpr_count:     0
    .args:
      - .actual_access:  write_only
        .address_space:  global
        .offset:         0
        .size:           8
        .value_kind:     global_buffer
      - .actual_access:  read_only
        .address_space:  global
        .offset:         8
        .size:           8
        .value_kind:     global_buffer
      - .offset:         16
        .size:           4
        .value_kind:     by_value
      - .offset:         20
        .size:           4
        .value_kind:     by_value
      - .offset:         24
        .size:           4
        .value_kind:     hidden_block_count_x
      - .offset:         28
        .size:           4
        .value_kind:     hidden_block_count_y
      - .offset:         32
        .size:           4
        .value_kind:     hidden_block_count_z
      - .offset:         36
        .size:           2
        .value_kind:     hidden_group_size_x
      - .offset:         38
        .size:           2
        .value_kind:     hidden_group_size_y
      - .offset:         40
        .size:           2
        .value_kind:     hidden_group_size_z
      - .offset:         42
        .size:           2
        .value_kind:     hidden_remainder_x
      - .offset:         44
        .size:           2
        .value_kind:     hidden_remainder_y
      - .offset:         46
        .size:           2
        .value_kind:     hidden_remainder_z
      - .offset:         64
        .size:           8
        .value_kind:     hidden_global_offset_x
      - .offset:         72
        .size:           8
        .value_kind:     hidden_global_offset_y
      - .offset:         80
        .size:           8
        .value_kind:     hidden_global_offset_z
      - .offset:         88
        .size:           2
        .value_kind:     hidden_grid_dims
    .group_segment_fixed_size: 0
    .kernarg_segment_align: 8
    .kernarg_segment_size: 280
    .language:       OpenCL C
    .language_version:
      - 2
      - 0
    .max_flat_workgroup_size: 1024
    .name:           _ZN4vllm29act_and_mul_kernel_with_paramIN3c108BFloat16E15__hip_bfloat162TnPFT_RKS4_fEXadL_ZNS_14fatrelu_kernelIS2_EES4_S6_fEETnPFT0_RKSA_fEXadL_ZNS_21packed_fatrelu_kernelIS3_EES4_S6_fEELb0ELb0EEEvPS4_PS5_if
    .private_segment_fixed_size: 0
    .sgpr_count:     35
    .sgpr_spill_count: 0
    .symbol:         _ZN4vllm29act_and_mul_kernel_with_paramIN3c108BFloat16E15__hip_bfloat162TnPFT_RKS4_fEXadL_ZNS_14fatrelu_kernelIS2_EES4_S6_fEETnPFT0_RKSA_fEXadL_ZNS_21packed_fatrelu_kernelIS3_EES4_S6_fEELb0ELb0EEEvPS4_PS5_if.kd
    .uniform_work_group_size: 1
    .uses_dynamic_stack: false
    .vgpr_count:     30
    .vgpr_spill_count: 0
    .wavefront_size: 64
  - .agpr_count:     0
    .args:
      - .address_space:  global
        .offset:         0
        .size:           8
        .value_kind:     global_buffer
      - .address_space:  global
        .offset:         8
        .size:           8
        .value_kind:     global_buffer
      - .offset:         16
        .size:           4
        .value_kind:     by_value
      - .offset:         20
        .size:           4
        .value_kind:     by_value
      - .offset:         24
        .size:           4
        .value_kind:     by_value
      - .offset:         32
        .size:           4
        .value_kind:     hidden_block_count_x
      - .offset:         36
        .size:           4
        .value_kind:     hidden_block_count_y
      - .offset:         40
        .size:           4
        .value_kind:     hidden_block_count_z
      - .offset:         44
        .size:           2
        .value_kind:     hidden_group_size_x
      - .offset:         46
        .size:           2
        .value_kind:     hidden_group_size_y
      - .offset:         48
        .size:           2
        .value_kind:     hidden_group_size_z
      - .offset:         50
        .size:           2
        .value_kind:     hidden_remainder_x
      - .offset:         52
        .size:           2
        .value_kind:     hidden_remainder_y
      - .offset:         54
        .size:           2
        .value_kind:     hidden_remainder_z
      - .offset:         72
        .size:           8
        .value_kind:     hidden_global_offset_x
      - .offset:         80
        .size:           8
        .value_kind:     hidden_global_offset_y
      - .offset:         88
        .size:           8
        .value_kind:     hidden_global_offset_z
      - .offset:         96
        .size:           2
        .value_kind:     hidden_grid_dims
    .group_segment_fixed_size: 0
    .kernarg_segment_align: 8
    .kernarg_segment_size: 288
    .language:       OpenCL C
    .language_version:
      - 2
      - 0
    .max_flat_workgroup_size: 1024
    .name:           _ZN4vllm24swigluoai_and_mul_kernelIfTnPFT_RKS1_S3_ffEXadL_ZNS_17swigluoai_and_mulIfEES1_S3_S3_ffEEEEvPS1_PS2_iff
    .private_segment_fixed_size: 0
    .sgpr_count:     44
    .sgpr_spill_count: 0
    .symbol:         _ZN4vllm24swigluoai_and_mul_kernelIfTnPFT_RKS1_S3_ffEXadL_ZNS_17swigluoai_and_mulIfEES1_S3_S3_ffEEEEvPS1_PS2_iff.kd
    .uniform_work_group_size: 1
    .uses_dynamic_stack: false
    .vgpr_count:     46
    .vgpr_spill_count: 0
    .wavefront_size: 64
  - .agpr_count:     0
    .args:
      - .address_space:  global
        .offset:         0
        .size:           8
        .value_kind:     global_buffer
      - .address_space:  global
        .offset:         8
        .size:           8
        .value_kind:     global_buffer
      - .offset:         16
        .size:           4
        .value_kind:     by_value
      - .offset:         20
        .size:           4
        .value_kind:     by_value
      - .offset:         24
        .size:           4
        .value_kind:     by_value
      - .offset:         32
        .size:           4
        .value_kind:     hidden_block_count_x
      - .offset:         36
        .size:           4
        .value_kind:     hidden_block_count_y
      - .offset:         40
        .size:           4
        .value_kind:     hidden_block_count_z
      - .offset:         44
        .size:           2
        .value_kind:     hidden_group_size_x
      - .offset:         46
        .size:           2
        .value_kind:     hidden_group_size_y
      - .offset:         48
        .size:           2
        .value_kind:     hidden_group_size_z
      - .offset:         50
        .size:           2
        .value_kind:     hidden_remainder_x
      - .offset:         52
        .size:           2
        .value_kind:     hidden_remainder_y
      - .offset:         54
        .size:           2
        .value_kind:     hidden_remainder_z
      - .offset:         72
        .size:           8
        .value_kind:     hidden_global_offset_x
      - .offset:         80
        .size:           8
        .value_kind:     hidden_global_offset_y
      - .offset:         88
        .size:           8
        .value_kind:     hidden_global_offset_z
      - .offset:         96
        .size:           2
        .value_kind:     hidden_grid_dims
    .group_segment_fixed_size: 0
    .kernarg_segment_align: 8
    .kernarg_segment_size: 288
    .language:       OpenCL C
    .language_version:
      - 2
      - 0
    .max_flat_workgroup_size: 1024
    .name:           _ZN4vllm24swigluoai_and_mul_kernelIN3c104HalfETnPFT_RKS3_S5_ffEXadL_ZNS_17swigluoai_and_mulIS2_EES3_S5_S5_ffEEEEvPS3_PS4_iff
    .private_segment_fixed_size: 0
    .sgpr_count:     46
    .sgpr_spill_count: 0
    .symbol:         _ZN4vllm24swigluoai_and_mul_kernelIN3c104HalfETnPFT_RKS3_S5_ffEXadL_ZNS_17swigluoai_and_mulIS2_EES3_S5_S5_ffEEEEvPS3_PS4_iff.kd
    .uniform_work_group_size: 1
    .uses_dynamic_stack: false
    .vgpr_count:     58
    .vgpr_spill_count: 0
    .wavefront_size: 64
  - .agpr_count:     0
    .args:
      - .address_space:  global
        .offset:         0
        .size:           8
        .value_kind:     global_buffer
      - .address_space:  global
        .offset:         8
        .size:           8
        .value_kind:     global_buffer
      - .offset:         16
        .size:           4
        .value_kind:     by_value
      - .offset:         20
        .size:           4
        .value_kind:     by_value
      - .offset:         24
        .size:           4
        .value_kind:     by_value
      - .offset:         32
        .size:           4
        .value_kind:     hidden_block_count_x
      - .offset:         36
        .size:           4
        .value_kind:     hidden_block_count_y
      - .offset:         40
        .size:           4
        .value_kind:     hidden_block_count_z
      - .offset:         44
        .size:           2
        .value_kind:     hidden_group_size_x
      - .offset:         46
        .size:           2
        .value_kind:     hidden_group_size_y
      - .offset:         48
        .size:           2
        .value_kind:     hidden_group_size_z
      - .offset:         50
        .size:           2
        .value_kind:     hidden_remainder_x
      - .offset:         52
        .size:           2
        .value_kind:     hidden_remainder_y
      - .offset:         54
        .size:           2
        .value_kind:     hidden_remainder_z
      - .offset:         72
        .size:           8
        .value_kind:     hidden_global_offset_x
      - .offset:         80
        .size:           8
        .value_kind:     hidden_global_offset_y
      - .offset:         88
        .size:           8
        .value_kind:     hidden_global_offset_z
      - .offset:         96
        .size:           2
        .value_kind:     hidden_grid_dims
    .group_segment_fixed_size: 0
    .kernarg_segment_align: 8
    .kernarg_segment_size: 288
    .language:       OpenCL C
    .language_version:
      - 2
      - 0
    .max_flat_workgroup_size: 1024
    .name:           _ZN4vllm24swigluoai_and_mul_kernelIN3c108BFloat16ETnPFT_RKS3_S5_ffEXadL_ZNS_17swigluoai_and_mulIS2_EES3_S5_S5_ffEEEEvPS3_PS4_iff
    .private_segment_fixed_size: 0
    .sgpr_count:     48
    .sgpr_spill_count: 0
    .symbol:         _ZN4vllm24swigluoai_and_mul_kernelIN3c108BFloat16ETnPFT_RKS3_S5_ffEXadL_ZNS_17swigluoai_and_mulIS2_EES3_S5_S5_ffEEEEvPS3_PS4_iff.kd
    .uniform_work_group_size: 1
    .uses_dynamic_stack: false
    .vgpr_count:     59
    .vgpr_spill_count: 0
    .wavefront_size: 64
  - .agpr_count:     0
    .args:
      - .actual_access:  read_only
        .address_space:  global
        .offset:         0
        .size:           8
        .value_kind:     global_buffer
      - .actual_access:  read_only
        .address_space:  global
        .offset:         8
        .size:           8
        .value_kind:     global_buffer
      - .offset:         16
        .size:           4
        .value_kind:     by_value
      - .offset:         24
        .size:           4
        .value_kind:     hidden_block_count_x
      - .offset:         28
        .size:           4
        .value_kind:     hidden_block_count_y
      - .offset:         32
        .size:           4
        .value_kind:     hidden_block_count_z
      - .offset:         36
        .size:           2
        .value_kind:     hidden_group_size_x
      - .offset:         38
        .size:           2
        .value_kind:     hidden_group_size_y
      - .offset:         40
        .size:           2
        .value_kind:     hidden_group_size_z
      - .offset:         42
        .size:           2
        .value_kind:     hidden_remainder_x
      - .offset:         44
        .size:           2
        .value_kind:     hidden_remainder_y
      - .offset:         46
        .size:           2
        .value_kind:     hidden_remainder_z
      - .offset:         64
        .size:           8
        .value_kind:     hidden_global_offset_x
      - .offset:         72
        .size:           8
        .value_kind:     hidden_global_offset_y
      - .offset:         80
        .size:           8
        .value_kind:     hidden_global_offset_z
      - .offset:         88
        .size:           2
        .value_kind:     hidden_grid_dims
      - .offset:         104
        .size:           8
        .value_kind:     hidden_hostcall_buffer
    .group_segment_fixed_size: 0
    .kernarg_segment_align: 8
    .kernarg_segment_size: 280
    .language:       OpenCL C
    .language_version:
      - 2
      - 0
    .max_flat_workgroup_size: 1024
    .name:           _ZN4vllm17activation_kernelIfTnPFT_RKS1_EXadL_ZNS_15gelu_new_kernelIfEES1_S3_EELb1ELb1EEEvPS1_PS2_i
    .private_segment_fixed_size: 64
    .sgpr_count:     40
    .sgpr_spill_count: 0
    .symbol:         _ZN4vllm17activation_kernelIfTnPFT_RKS1_EXadL_ZNS_15gelu_new_kernelIfEES1_S3_EELb1ELb1EEEvPS1_PS2_i.kd
    .uniform_work_group_size: 1
    .uses_dynamic_stack: false
    .vgpr_count:     51
    .vgpr_spill_count: 0
    .wavefront_size: 64
  - .agpr_count:     0
    .args:
      - .actual_access:  read_only
        .address_space:  global
        .offset:         0
        .size:           8
        .value_kind:     global_buffer
      - .actual_access:  read_only
        .address_space:  global
        .offset:         8
        .size:           8
        .value_kind:     global_buffer
      - .offset:         16
        .size:           4
        .value_kind:     by_value
      - .offset:         24
        .size:           4
        .value_kind:     hidden_block_count_x
      - .offset:         28
        .size:           4
        .value_kind:     hidden_block_count_y
      - .offset:         32
        .size:           4
        .value_kind:     hidden_block_count_z
      - .offset:         36
        .size:           2
        .value_kind:     hidden_group_size_x
      - .offset:         38
        .size:           2
        .value_kind:     hidden_group_size_y
      - .offset:         40
        .size:           2
        .value_kind:     hidden_group_size_z
      - .offset:         42
        .size:           2
        .value_kind:     hidden_remainder_x
      - .offset:         44
        .size:           2
        .value_kind:     hidden_remainder_y
      - .offset:         46
        .size:           2
        .value_kind:     hidden_remainder_z
      - .offset:         64
        .size:           8
        .value_kind:     hidden_global_offset_x
      - .offset:         72
        .size:           8
        .value_kind:     hidden_global_offset_y
      - .offset:         80
        .size:           8
        .value_kind:     hidden_global_offset_z
      - .offset:         88
        .size:           2
        .value_kind:     hidden_grid_dims
      - .offset:         104
        .size:           8
        .value_kind:     hidden_hostcall_buffer
    .group_segment_fixed_size: 0
    .kernarg_segment_align: 8
    .kernarg_segment_size: 280
    .language:       OpenCL C
    .language_version:
      - 2
      - 0
    .max_flat_workgroup_size: 1024
    .name:           _ZN4vllm17activation_kernelIN3c104HalfETnPFT_RKS3_EXadL_ZNS_15gelu_new_kernelIS2_EES3_S5_EELb1ELb1EEEvPS3_PS4_i
    .private_segment_fixed_size: 64
    .sgpr_count:     40
    .sgpr_spill_count: 0
    .symbol:         _ZN4vllm17activation_kernelIN3c104HalfETnPFT_RKS3_EXadL_ZNS_15gelu_new_kernelIS2_EES3_S5_EELb1ELb1EEEvPS3_PS4_i.kd
    .uniform_work_group_size: 1
    .uses_dynamic_stack: false
    .vgpr_count:     51
    .vgpr_spill_count: 0
    .wavefront_size: 64
  - .agpr_count:     0
    .args:
      - .actual_access:  read_only
        .address_space:  global
        .offset:         0
        .size:           8
        .value_kind:     global_buffer
      - .actual_access:  read_only
        .address_space:  global
        .offset:         8
        .size:           8
        .value_kind:     global_buffer
      - .offset:         16
        .size:           4
        .value_kind:     by_value
      - .offset:         24
        .size:           4
        .value_kind:     hidden_block_count_x
      - .offset:         28
        .size:           4
        .value_kind:     hidden_block_count_y
      - .offset:         32
        .size:           4
        .value_kind:     hidden_block_count_z
      - .offset:         36
        .size:           2
        .value_kind:     hidden_group_size_x
      - .offset:         38
        .size:           2
        .value_kind:     hidden_group_size_y
      - .offset:         40
        .size:           2
        .value_kind:     hidden_group_size_z
      - .offset:         42
        .size:           2
        .value_kind:     hidden_remainder_x
      - .offset:         44
        .size:           2
        .value_kind:     hidden_remainder_y
      - .offset:         46
        .size:           2
        .value_kind:     hidden_remainder_z
      - .offset:         64
        .size:           8
        .value_kind:     hidden_global_offset_x
      - .offset:         72
        .size:           8
        .value_kind:     hidden_global_offset_y
      - .offset:         80
        .size:           8
        .value_kind:     hidden_global_offset_z
      - .offset:         88
        .size:           2
        .value_kind:     hidden_grid_dims
      - .offset:         104
        .size:           8
        .value_kind:     hidden_hostcall_buffer
    .group_segment_fixed_size: 0
    .kernarg_segment_align: 8
    .kernarg_segment_size: 280
    .language:       OpenCL C
    .language_version:
      - 2
      - 0
    .max_flat_workgroup_size: 1024
    .name:           _ZN4vllm17activation_kernelIN3c108BFloat16ETnPFT_RKS3_EXadL_ZNS_15gelu_new_kernelIS2_EES3_S5_EELb1ELb1EEEvPS3_PS4_i
    .private_segment_fixed_size: 64
    .sgpr_count:     40
    .sgpr_spill_count: 0
    .symbol:         _ZN4vllm17activation_kernelIN3c108BFloat16ETnPFT_RKS3_EXadL_ZNS_15gelu_new_kernelIS2_EES3_S5_EELb1ELb1EEEvPS3_PS4_i.kd
    .uniform_work_group_size: 1
    .uses_dynamic_stack: false
    .vgpr_count:     51
    .vgpr_spill_count: 0
    .wavefront_size: 64
  - .agpr_count:     0
    .args:
      - .actual_access:  write_only
        .address_space:  global
        .offset:         0
        .size:           8
        .value_kind:     global_buffer
      - .actual_access:  read_only
        .address_space:  global
        .offset:         8
        .size:           8
        .value_kind:     global_buffer
      - .offset:         16
        .size:           4
        .value_kind:     by_value
      - .offset:         24
        .size:           4
        .value_kind:     hidden_block_count_x
      - .offset:         28
        .size:           4
        .value_kind:     hidden_block_count_y
      - .offset:         32
        .size:           4
        .value_kind:     hidden_block_count_z
      - .offset:         36
        .size:           2
        .value_kind:     hidden_group_size_x
      - .offset:         38
        .size:           2
        .value_kind:     hidden_group_size_y
      - .offset:         40
        .size:           2
        .value_kind:     hidden_group_size_z
      - .offset:         42
        .size:           2
        .value_kind:     hidden_remainder_x
      - .offset:         44
        .size:           2
        .value_kind:     hidden_remainder_y
      - .offset:         46
        .size:           2
        .value_kind:     hidden_remainder_z
      - .offset:         64
        .size:           8
        .value_kind:     hidden_global_offset_x
      - .offset:         72
        .size:           8
        .value_kind:     hidden_global_offset_y
      - .offset:         80
        .size:           8
        .value_kind:     hidden_global_offset_z
      - .offset:         88
        .size:           2
        .value_kind:     hidden_grid_dims
    .group_segment_fixed_size: 0
    .kernarg_segment_align: 8
    .kernarg_segment_size: 280
    .language:       OpenCL C
    .language_version:
      - 2
      - 0
    .max_flat_workgroup_size: 1024
    .name:           _ZN4vllm17activation_kernelIfTnPFT_RKS1_EXadL_ZNS_15gelu_new_kernelIfEES1_S3_EELb1ELb0EEEvPS1_PS2_i
    .private_segment_fixed_size: 0
    .sgpr_count:     22
    .sgpr_spill_count: 0
    .symbol:         _ZN4vllm17activation_kernelIfTnPFT_RKS1_EXadL_ZNS_15gelu_new_kernelIfEES1_S3_EELb1ELb0EEEvPS1_PS2_i.kd
    .uniform_work_group_size: 1
    .uses_dynamic_stack: false
    .vgpr_count:     25
    .vgpr_spill_count: 0
    .wavefront_size: 64
  - .agpr_count:     0
    .args:
      - .actual_access:  write_only
        .address_space:  global
        .offset:         0
        .size:           8
        .value_kind:     global_buffer
      - .actual_access:  read_only
        .address_space:  global
        .offset:         8
        .size:           8
        .value_kind:     global_buffer
      - .offset:         16
        .size:           4
        .value_kind:     by_value
      - .offset:         24
        .size:           4
        .value_kind:     hidden_block_count_x
      - .offset:         28
        .size:           4
        .value_kind:     hidden_block_count_y
      - .offset:         32
        .size:           4
        .value_kind:     hidden_block_count_z
      - .offset:         36
        .size:           2
        .value_kind:     hidden_group_size_x
      - .offset:         38
        .size:           2
        .value_kind:     hidden_group_size_y
      - .offset:         40
        .size:           2
        .value_kind:     hidden_group_size_z
      - .offset:         42
        .size:           2
        .value_kind:     hidden_remainder_x
      - .offset:         44
        .size:           2
        .value_kind:     hidden_remainder_y
      - .offset:         46
        .size:           2
        .value_kind:     hidden_remainder_z
      - .offset:         64
        .size:           8
        .value_kind:     hidden_global_offset_x
      - .offset:         72
        .size:           8
        .value_kind:     hidden_global_offset_y
      - .offset:         80
        .size:           8
        .value_kind:     hidden_global_offset_z
      - .offset:         88
        .size:           2
        .value_kind:     hidden_grid_dims
    .group_segment_fixed_size: 0
    .kernarg_segment_align: 8
    .kernarg_segment_size: 280
    .language:       OpenCL C
    .language_version:
      - 2
      - 0
    .max_flat_workgroup_size: 1024
    .name:           _ZN4vllm17activation_kernelIN3c104HalfETnPFT_RKS3_EXadL_ZNS_15gelu_new_kernelIS2_EES3_S5_EELb1ELb0EEEvPS3_PS4_i
    .private_segment_fixed_size: 0
    .sgpr_count:     24
    .sgpr_spill_count: 0
    .symbol:         _ZN4vllm17activation_kernelIN3c104HalfETnPFT_RKS3_EXadL_ZNS_15gelu_new_kernelIS2_EES3_S5_EELb1ELb0EEEvPS3_PS4_i.kd
    .uniform_work_group_size: 1
    .uses_dynamic_stack: false
    .vgpr_count:     34
    .vgpr_spill_count: 0
    .wavefront_size: 64
  - .agpr_count:     0
    .args:
      - .actual_access:  write_only
        .address_space:  global
        .offset:         0
        .size:           8
        .value_kind:     global_buffer
      - .actual_access:  read_only
        .address_space:  global
        .offset:         8
        .size:           8
        .value_kind:     global_buffer
      - .offset:         16
        .size:           4
        .value_kind:     by_value
      - .offset:         24
        .size:           4
        .value_kind:     hidden_block_count_x
      - .offset:         28
        .size:           4
        .value_kind:     hidden_block_count_y
      - .offset:         32
        .size:           4
        .value_kind:     hidden_block_count_z
      - .offset:         36
        .size:           2
        .value_kind:     hidden_group_size_x
      - .offset:         38
        .size:           2
        .value_kind:     hidden_group_size_y
      - .offset:         40
        .size:           2
        .value_kind:     hidden_group_size_z
      - .offset:         42
        .size:           2
        .value_kind:     hidden_remainder_x
      - .offset:         44
        .size:           2
        .value_kind:     hidden_remainder_y
      - .offset:         46
        .size:           2
        .value_kind:     hidden_remainder_z
      - .offset:         64
        .size:           8
        .value_kind:     hidden_global_offset_x
      - .offset:         72
        .size:           8
        .value_kind:     hidden_global_offset_y
      - .offset:         80
        .size:           8
        .value_kind:     hidden_global_offset_z
      - .offset:         88
        .size:           2
        .value_kind:     hidden_grid_dims
    .group_segment_fixed_size: 0
    .kernarg_segment_align: 8
    .kernarg_segment_size: 280
    .language:       OpenCL C
    .language_version:
      - 2
      - 0
    .max_flat_workgroup_size: 1024
    .name:           _ZN4vllm17activation_kernelIN3c108BFloat16ETnPFT_RKS3_EXadL_ZNS_15gelu_new_kernelIS2_EES3_S5_EELb1ELb0EEEvPS3_PS4_i
    .private_segment_fixed_size: 0
    .sgpr_count:     23
    .sgpr_spill_count: 0
    .symbol:         _ZN4vllm17activation_kernelIN3c108BFloat16ETnPFT_RKS3_EXadL_ZNS_15gelu_new_kernelIS2_EES3_S5_EELb1ELb0EEEvPS3_PS4_i.kd
    .uniform_work_group_size: 1
    .uses_dynamic_stack: false
    .vgpr_count:     39
    .vgpr_spill_count: 0
    .wavefront_size: 64
  - .agpr_count:     0
    .args:
      - .actual_access:  write_only
        .address_space:  global
        .offset:         0
        .size:           8
        .value_kind:     global_buffer
      - .actual_access:  read_only
        .address_space:  global
        .offset:         8
        .size:           8
        .value_kind:     global_buffer
      - .offset:         16
        .size:           4
        .value_kind:     by_value
      - .offset:         24
        .size:           4
        .value_kind:     hidden_block_count_x
      - .offset:         28
        .size:           4
        .value_kind:     hidden_block_count_y
      - .offset:         32
        .size:           4
        .value_kind:     hidden_block_count_z
      - .offset:         36
        .size:           2
        .value_kind:     hidden_group_size_x
      - .offset:         38
        .size:           2
        .value_kind:     hidden_group_size_y
      - .offset:         40
        .size:           2
        .value_kind:     hidden_group_size_z
      - .offset:         42
        .size:           2
        .value_kind:     hidden_remainder_x
      - .offset:         44
        .size:           2
        .value_kind:     hidden_remainder_y
      - .offset:         46
        .size:           2
        .value_kind:     hidden_remainder_z
      - .offset:         64
        .size:           8
        .value_kind:     hidden_global_offset_x
      - .offset:         72
        .size:           8
        .value_kind:     hidden_global_offset_y
      - .offset:         80
        .size:           8
        .value_kind:     hidden_global_offset_z
      - .offset:         88
        .size:           2
        .value_kind:     hidden_grid_dims
    .group_segment_fixed_size: 0
    .kernarg_segment_align: 8
    .kernarg_segment_size: 280
    .language:       OpenCL C
    .language_version:
      - 2
      - 0
    .max_flat_workgroup_size: 1024
    .name:           _ZN4vllm17activation_kernelIfTnPFT_RKS1_EXadL_ZNS_15gelu_new_kernelIfEES1_S3_EELb0ELb0EEEvPS1_PS2_i
    .private_segment_fixed_size: 0
    .sgpr_count:     22
    .sgpr_spill_count: 0
    .symbol:         _ZN4vllm17activation_kernelIfTnPFT_RKS1_EXadL_ZNS_15gelu_new_kernelIfEES1_S3_EELb0ELb0EEEvPS1_PS2_i.kd
    .uniform_work_group_size: 1
    .uses_dynamic_stack: false
    .vgpr_count:     18
    .vgpr_spill_count: 0
    .wavefront_size: 64
  - .agpr_count:     0
    .args:
      - .actual_access:  write_only
        .address_space:  global
        .offset:         0
        .size:           8
        .value_kind:     global_buffer
      - .actual_access:  read_only
        .address_space:  global
        .offset:         8
        .size:           8
        .value_kind:     global_buffer
      - .offset:         16
        .size:           4
        .value_kind:     by_value
      - .offset:         24
        .size:           4
        .value_kind:     hidden_block_count_x
      - .offset:         28
        .size:           4
        .value_kind:     hidden_block_count_y
      - .offset:         32
        .size:           4
        .value_kind:     hidden_block_count_z
      - .offset:         36
        .size:           2
        .value_kind:     hidden_group_size_x
      - .offset:         38
        .size:           2
        .value_kind:     hidden_group_size_y
      - .offset:         40
        .size:           2
        .value_kind:     hidden_group_size_z
      - .offset:         42
        .size:           2
        .value_kind:     hidden_remainder_x
      - .offset:         44
        .size:           2
        .value_kind:     hidden_remainder_y
      - .offset:         46
        .size:           2
        .value_kind:     hidden_remainder_z
      - .offset:         64
        .size:           8
        .value_kind:     hidden_global_offset_x
      - .offset:         72
        .size:           8
        .value_kind:     hidden_global_offset_y
      - .offset:         80
        .size:           8
        .value_kind:     hidden_global_offset_z
      - .offset:         88
        .size:           2
        .value_kind:     hidden_grid_dims
    .group_segment_fixed_size: 0
    .kernarg_segment_align: 8
    .kernarg_segment_size: 280
    .language:       OpenCL C
    .language_version:
      - 2
      - 0
    .max_flat_workgroup_size: 1024
    .name:           _ZN4vllm17activation_kernelIN3c104HalfETnPFT_RKS3_EXadL_ZNS_15gelu_new_kernelIS2_EES3_S5_EELb0ELb0EEEvPS3_PS4_i
    .private_segment_fixed_size: 0
    .sgpr_count:     24
    .sgpr_spill_count: 0
    .symbol:         _ZN4vllm17activation_kernelIN3c104HalfETnPFT_RKS3_EXadL_ZNS_15gelu_new_kernelIS2_EES3_S5_EELb0ELb0EEEvPS3_PS4_i.kd
    .uniform_work_group_size: 1
    .uses_dynamic_stack: false
    .vgpr_count:     18
    .vgpr_spill_count: 0
    .wavefront_size: 64
  - .agpr_count:     0
    .args:
      - .actual_access:  write_only
        .address_space:  global
        .offset:         0
        .size:           8
        .value_kind:     global_buffer
      - .actual_access:  read_only
        .address_space:  global
        .offset:         8
        .size:           8
        .value_kind:     global_buffer
      - .offset:         16
        .size:           4
        .value_kind:     by_value
      - .offset:         24
        .size:           4
        .value_kind:     hidden_block_count_x
      - .offset:         28
        .size:           4
        .value_kind:     hidden_block_count_y
      - .offset:         32
        .size:           4
        .value_kind:     hidden_block_count_z
      - .offset:         36
        .size:           2
        .value_kind:     hidden_group_size_x
      - .offset:         38
        .size:           2
        .value_kind:     hidden_group_size_y
      - .offset:         40
        .size:           2
        .value_kind:     hidden_group_size_z
      - .offset:         42
        .size:           2
        .value_kind:     hidden_remainder_x
      - .offset:         44
        .size:           2
        .value_kind:     hidden_remainder_y
      - .offset:         46
        .size:           2
        .value_kind:     hidden_remainder_z
      - .offset:         64
        .size:           8
        .value_kind:     hidden_global_offset_x
      - .offset:         72
        .size:           8
        .value_kind:     hidden_global_offset_y
      - .offset:         80
        .size:           8
        .value_kind:     hidden_global_offset_z
      - .offset:         88
        .size:           2
        .value_kind:     hidden_grid_dims
    .group_segment_fixed_size: 0
    .kernarg_segment_align: 8
    .kernarg_segment_size: 280
    .language:       OpenCL C
    .language_version:
      - 2
      - 0
    .max_flat_workgroup_size: 1024
    .name:           _ZN4vllm17activation_kernelIN3c108BFloat16ETnPFT_RKS3_EXadL_ZNS_15gelu_new_kernelIS2_EES3_S5_EELb0ELb0EEEvPS3_PS4_i
    .private_segment_fixed_size: 0
    .sgpr_count:     23
    .sgpr_spill_count: 0
    .symbol:         _ZN4vllm17activation_kernelIN3c108BFloat16ETnPFT_RKS3_EXadL_ZNS_15gelu_new_kernelIS2_EES3_S5_EELb0ELb0EEEvPS3_PS4_i.kd
    .uniform_work_group_size: 1
    .uses_dynamic_stack: false
    .vgpr_count:     20
    .vgpr_spill_count: 0
    .wavefront_size: 64
  - .agpr_count:     0
    .args:
      - .actual_access:  read_only
        .address_space:  global
        .offset:         0
        .size:           8
        .value_kind:     global_buffer
      - .actual_access:  read_only
        .address_space:  global
        .offset:         8
        .size:           8
        .value_kind:     global_buffer
      - .offset:         16
        .size:           4
        .value_kind:     by_value
      - .offset:         24
        .size:           4
        .value_kind:     hidden_block_count_x
      - .offset:         28
        .size:           4
        .value_kind:     hidden_block_count_y
      - .offset:         32
        .size:           4
        .value_kind:     hidden_block_count_z
      - .offset:         36
        .size:           2
        .value_kind:     hidden_group_size_x
      - .offset:         38
        .size:           2
        .value_kind:     hidden_group_size_y
      - .offset:         40
        .size:           2
        .value_kind:     hidden_group_size_z
      - .offset:         42
        .size:           2
        .value_kind:     hidden_remainder_x
      - .offset:         44
        .size:           2
        .value_kind:     hidden_remainder_y
      - .offset:         46
        .size:           2
        .value_kind:     hidden_remainder_z
      - .offset:         64
        .size:           8
        .value_kind:     hidden_global_offset_x
      - .offset:         72
        .size:           8
        .value_kind:     hidden_global_offset_y
      - .offset:         80
        .size:           8
        .value_kind:     hidden_global_offset_z
      - .offset:         88
        .size:           2
        .value_kind:     hidden_grid_dims
      - .offset:         104
        .size:           8
        .value_kind:     hidden_hostcall_buffer
    .group_segment_fixed_size: 0
    .kernarg_segment_align: 8
    .kernarg_segment_size: 280
    .language:       OpenCL C
    .language_version:
      - 2
      - 0
    .max_flat_workgroup_size: 1024
    .name:           _ZN4vllm17activation_kernelIfTnPFT_RKS1_EXadL_ZNS_16gelu_fast_kernelIfEES1_S3_EELb1ELb1EEEvPS1_PS2_i
    .private_segment_fixed_size: 64
    .sgpr_count:     40
    .sgpr_spill_count: 0
    .symbol:         _ZN4vllm17activation_kernelIfTnPFT_RKS1_EXadL_ZNS_16gelu_fast_kernelIfEES1_S3_EELb1ELb1EEEvPS1_PS2_i.kd
    .uniform_work_group_size: 1
    .uses_dynamic_stack: false
    .vgpr_count:     51
    .vgpr_spill_count: 0
    .wavefront_size: 64
  - .agpr_count:     0
    .args:
      - .actual_access:  read_only
        .address_space:  global
        .offset:         0
        .size:           8
        .value_kind:     global_buffer
      - .actual_access:  read_only
        .address_space:  global
        .offset:         8
        .size:           8
        .value_kind:     global_buffer
      - .offset:         16
        .size:           4
        .value_kind:     by_value
      - .offset:         24
        .size:           4
        .value_kind:     hidden_block_count_x
      - .offset:         28
        .size:           4
        .value_kind:     hidden_block_count_y
      - .offset:         32
        .size:           4
        .value_kind:     hidden_block_count_z
      - .offset:         36
        .size:           2
        .value_kind:     hidden_group_size_x
      - .offset:         38
        .size:           2
        .value_kind:     hidden_group_size_y
      - .offset:         40
        .size:           2
        .value_kind:     hidden_group_size_z
      - .offset:         42
        .size:           2
        .value_kind:     hidden_remainder_x
      - .offset:         44
        .size:           2
        .value_kind:     hidden_remainder_y
      - .offset:         46
        .size:           2
        .value_kind:     hidden_remainder_z
      - .offset:         64
        .size:           8
        .value_kind:     hidden_global_offset_x
      - .offset:         72
        .size:           8
        .value_kind:     hidden_global_offset_y
      - .offset:         80
        .size:           8
        .value_kind:     hidden_global_offset_z
      - .offset:         88
        .size:           2
        .value_kind:     hidden_grid_dims
      - .offset:         104
        .size:           8
        .value_kind:     hidden_hostcall_buffer
    .group_segment_fixed_size: 0
    .kernarg_segment_align: 8
    .kernarg_segment_size: 280
    .language:       OpenCL C
    .language_version:
      - 2
      - 0
    .max_flat_workgroup_size: 1024
    .name:           _ZN4vllm17activation_kernelIN3c104HalfETnPFT_RKS3_EXadL_ZNS_16gelu_fast_kernelIS2_EES3_S5_EELb1ELb1EEEvPS3_PS4_i
    .private_segment_fixed_size: 64
    .sgpr_count:     40
    .sgpr_spill_count: 0
    .symbol:         _ZN4vllm17activation_kernelIN3c104HalfETnPFT_RKS3_EXadL_ZNS_16gelu_fast_kernelIS2_EES3_S5_EELb1ELb1EEEvPS3_PS4_i.kd
    .uniform_work_group_size: 1
    .uses_dynamic_stack: false
    .vgpr_count:     51
    .vgpr_spill_count: 0
    .wavefront_size: 64
  - .agpr_count:     0
    .args:
      - .actual_access:  read_only
        .address_space:  global
        .offset:         0
        .size:           8
        .value_kind:     global_buffer
      - .actual_access:  read_only
        .address_space:  global
        .offset:         8
        .size:           8
        .value_kind:     global_buffer
      - .offset:         16
        .size:           4
        .value_kind:     by_value
      - .offset:         24
        .size:           4
        .value_kind:     hidden_block_count_x
      - .offset:         28
        .size:           4
        .value_kind:     hidden_block_count_y
      - .offset:         32
        .size:           4
        .value_kind:     hidden_block_count_z
      - .offset:         36
        .size:           2
        .value_kind:     hidden_group_size_x
      - .offset:         38
        .size:           2
        .value_kind:     hidden_group_size_y
      - .offset:         40
        .size:           2
        .value_kind:     hidden_group_size_z
      - .offset:         42
        .size:           2
        .value_kind:     hidden_remainder_x
      - .offset:         44
        .size:           2
        .value_kind:     hidden_remainder_y
      - .offset:         46
        .size:           2
        .value_kind:     hidden_remainder_z
      - .offset:         64
        .size:           8
        .value_kind:     hidden_global_offset_x
      - .offset:         72
        .size:           8
        .value_kind:     hidden_global_offset_y
      - .offset:         80
        .size:           8
        .value_kind:     hidden_global_offset_z
      - .offset:         88
        .size:           2
        .value_kind:     hidden_grid_dims
      - .offset:         104
        .size:           8
        .value_kind:     hidden_hostcall_buffer
    .group_segment_fixed_size: 0
    .kernarg_segment_align: 8
    .kernarg_segment_size: 280
    .language:       OpenCL C
    .language_version:
      - 2
      - 0
    .max_flat_workgroup_size: 1024
    .name:           _ZN4vllm17activation_kernelIN3c108BFloat16ETnPFT_RKS3_EXadL_ZNS_16gelu_fast_kernelIS2_EES3_S5_EELb1ELb1EEEvPS3_PS4_i
    .private_segment_fixed_size: 64
    .sgpr_count:     40
    .sgpr_spill_count: 0
    .symbol:         _ZN4vllm17activation_kernelIN3c108BFloat16ETnPFT_RKS3_EXadL_ZNS_16gelu_fast_kernelIS2_EES3_S5_EELb1ELb1EEEvPS3_PS4_i.kd
    .uniform_work_group_size: 1
    .uses_dynamic_stack: false
    .vgpr_count:     51
    .vgpr_spill_count: 0
    .wavefront_size: 64
  - .agpr_count:     0
    .args:
      - .actual_access:  write_only
        .address_space:  global
        .offset:         0
        .size:           8
        .value_kind:     global_buffer
      - .actual_access:  read_only
        .address_space:  global
        .offset:         8
        .size:           8
        .value_kind:     global_buffer
      - .offset:         16
        .size:           4
        .value_kind:     by_value
      - .offset:         24
        .size:           4
        .value_kind:     hidden_block_count_x
      - .offset:         28
        .size:           4
        .value_kind:     hidden_block_count_y
      - .offset:         32
        .size:           4
        .value_kind:     hidden_block_count_z
      - .offset:         36
        .size:           2
        .value_kind:     hidden_group_size_x
      - .offset:         38
        .size:           2
        .value_kind:     hidden_group_size_y
      - .offset:         40
        .size:           2
        .value_kind:     hidden_group_size_z
      - .offset:         42
        .size:           2
        .value_kind:     hidden_remainder_x
      - .offset:         44
        .size:           2
        .value_kind:     hidden_remainder_y
      - .offset:         46
        .size:           2
        .value_kind:     hidden_remainder_z
      - .offset:         64
        .size:           8
        .value_kind:     hidden_global_offset_x
      - .offset:         72
        .size:           8
        .value_kind:     hidden_global_offset_y
      - .offset:         80
        .size:           8
        .value_kind:     hidden_global_offset_z
      - .offset:         88
        .size:           2
        .value_kind:     hidden_grid_dims
    .group_segment_fixed_size: 0
    .kernarg_segment_align: 8
    .kernarg_segment_size: 280
    .language:       OpenCL C
    .language_version:
      - 2
      - 0
    .max_flat_workgroup_size: 1024
    .name:           _ZN4vllm17activation_kernelIfTnPFT_RKS1_EXadL_ZNS_16gelu_fast_kernelIfEES1_S3_EELb1ELb0EEEvPS1_PS2_i
    .private_segment_fixed_size: 0
    .sgpr_count:     22
    .sgpr_spill_count: 0
    .symbol:         _ZN4vllm17activation_kernelIfTnPFT_RKS1_EXadL_ZNS_16gelu_fast_kernelIfEES1_S3_EELb1ELb0EEEvPS1_PS2_i.kd
    .uniform_work_group_size: 1
    .uses_dynamic_stack: false
    .vgpr_count:     25
    .vgpr_spill_count: 0
    .wavefront_size: 64
  - .agpr_count:     0
    .args:
      - .actual_access:  write_only
        .address_space:  global
        .offset:         0
        .size:           8
        .value_kind:     global_buffer
      - .actual_access:  read_only
        .address_space:  global
        .offset:         8
        .size:           8
        .value_kind:     global_buffer
      - .offset:         16
        .size:           4
        .value_kind:     by_value
      - .offset:         24
        .size:           4
        .value_kind:     hidden_block_count_x
      - .offset:         28
        .size:           4
        .value_kind:     hidden_block_count_y
      - .offset:         32
        .size:           4
        .value_kind:     hidden_block_count_z
      - .offset:         36
        .size:           2
        .value_kind:     hidden_group_size_x
      - .offset:         38
        .size:           2
        .value_kind:     hidden_group_size_y
      - .offset:         40
        .size:           2
        .value_kind:     hidden_group_size_z
      - .offset:         42
        .size:           2
        .value_kind:     hidden_remainder_x
      - .offset:         44
        .size:           2
        .value_kind:     hidden_remainder_y
      - .offset:         46
        .size:           2
        .value_kind:     hidden_remainder_z
      - .offset:         64
        .size:           8
        .value_kind:     hidden_global_offset_x
      - .offset:         72
        .size:           8
        .value_kind:     hidden_global_offset_y
      - .offset:         80
        .size:           8
        .value_kind:     hidden_global_offset_z
      - .offset:         88
        .size:           2
        .value_kind:     hidden_grid_dims
    .group_segment_fixed_size: 0
    .kernarg_segment_align: 8
    .kernarg_segment_size: 280
    .language:       OpenCL C
    .language_version:
      - 2
      - 0
    .max_flat_workgroup_size: 1024
    .name:           _ZN4vllm17activation_kernelIN3c104HalfETnPFT_RKS3_EXadL_ZNS_16gelu_fast_kernelIS2_EES3_S5_EELb1ELb0EEEvPS3_PS4_i
    .private_segment_fixed_size: 0
    .sgpr_count:     24
    .sgpr_spill_count: 0
    .symbol:         _ZN4vllm17activation_kernelIN3c104HalfETnPFT_RKS3_EXadL_ZNS_16gelu_fast_kernelIS2_EES3_S5_EELb1ELb0EEEvPS3_PS4_i.kd
    .uniform_work_group_size: 1
    .uses_dynamic_stack: false
    .vgpr_count:     37
    .vgpr_spill_count: 0
    .wavefront_size: 64
  - .agpr_count:     0
    .args:
      - .actual_access:  write_only
        .address_space:  global
        .offset:         0
        .size:           8
        .value_kind:     global_buffer
      - .actual_access:  read_only
        .address_space:  global
        .offset:         8
        .size:           8
        .value_kind:     global_buffer
      - .offset:         16
        .size:           4
        .value_kind:     by_value
      - .offset:         24
        .size:           4
        .value_kind:     hidden_block_count_x
      - .offset:         28
        .size:           4
        .value_kind:     hidden_block_count_y
      - .offset:         32
        .size:           4
        .value_kind:     hidden_block_count_z
      - .offset:         36
        .size:           2
        .value_kind:     hidden_group_size_x
      - .offset:         38
        .size:           2
        .value_kind:     hidden_group_size_y
      - .offset:         40
        .size:           2
        .value_kind:     hidden_group_size_z
      - .offset:         42
        .size:           2
        .value_kind:     hidden_remainder_x
      - .offset:         44
        .size:           2
        .value_kind:     hidden_remainder_y
      - .offset:         46
        .size:           2
        .value_kind:     hidden_remainder_z
      - .offset:         64
        .size:           8
        .value_kind:     hidden_global_offset_x
      - .offset:         72
        .size:           8
        .value_kind:     hidden_global_offset_y
      - .offset:         80
        .size:           8
        .value_kind:     hidden_global_offset_z
      - .offset:         88
        .size:           2
        .value_kind:     hidden_grid_dims
    .group_segment_fixed_size: 0
    .kernarg_segment_align: 8
    .kernarg_segment_size: 280
    .language:       OpenCL C
    .language_version:
      - 2
      - 0
    .max_flat_workgroup_size: 1024
    .name:           _ZN4vllm17activation_kernelIN3c108BFloat16ETnPFT_RKS3_EXadL_ZNS_16gelu_fast_kernelIS2_EES3_S5_EELb1ELb0EEEvPS3_PS4_i
    .private_segment_fixed_size: 0
    .sgpr_count:     23
    .sgpr_spill_count: 0
    .symbol:         _ZN4vllm17activation_kernelIN3c108BFloat16ETnPFT_RKS3_EXadL_ZNS_16gelu_fast_kernelIS2_EES3_S5_EELb1ELb0EEEvPS3_PS4_i.kd
    .uniform_work_group_size: 1
    .uses_dynamic_stack: false
    .vgpr_count:     39
    .vgpr_spill_count: 0
    .wavefront_size: 64
  - .agpr_count:     0
    .args:
      - .actual_access:  write_only
        .address_space:  global
        .offset:         0
        .size:           8
        .value_kind:     global_buffer
      - .actual_access:  read_only
        .address_space:  global
        .offset:         8
        .size:           8
        .value_kind:     global_buffer
      - .offset:         16
        .size:           4
        .value_kind:     by_value
      - .offset:         24
        .size:           4
        .value_kind:     hidden_block_count_x
      - .offset:         28
        .size:           4
        .value_kind:     hidden_block_count_y
      - .offset:         32
        .size:           4
        .value_kind:     hidden_block_count_z
      - .offset:         36
        .size:           2
        .value_kind:     hidden_group_size_x
      - .offset:         38
        .size:           2
        .value_kind:     hidden_group_size_y
      - .offset:         40
        .size:           2
        .value_kind:     hidden_group_size_z
      - .offset:         42
        .size:           2
        .value_kind:     hidden_remainder_x
      - .offset:         44
        .size:           2
        .value_kind:     hidden_remainder_y
      - .offset:         46
        .size:           2
        .value_kind:     hidden_remainder_z
      - .offset:         64
        .size:           8
        .value_kind:     hidden_global_offset_x
      - .offset:         72
        .size:           8
        .value_kind:     hidden_global_offset_y
      - .offset:         80
        .size:           8
        .value_kind:     hidden_global_offset_z
      - .offset:         88
        .size:           2
        .value_kind:     hidden_grid_dims
    .group_segment_fixed_size: 0
    .kernarg_segment_align: 8
    .kernarg_segment_size: 280
    .language:       OpenCL C
    .language_version:
      - 2
      - 0
    .max_flat_workgroup_size: 1024
    .name:           _ZN4vllm17activation_kernelIfTnPFT_RKS1_EXadL_ZNS_16gelu_fast_kernelIfEES1_S3_EELb0ELb0EEEvPS1_PS2_i
    .private_segment_fixed_size: 0
    .sgpr_count:     22
    .sgpr_spill_count: 0
    .symbol:         _ZN4vllm17activation_kernelIfTnPFT_RKS1_EXadL_ZNS_16gelu_fast_kernelIfEES1_S3_EELb0ELb0EEEvPS1_PS2_i.kd
    .uniform_work_group_size: 1
    .uses_dynamic_stack: false
    .vgpr_count:     18
    .vgpr_spill_count: 0
    .wavefront_size: 64
  - .agpr_count:     0
    .args:
      - .actual_access:  write_only
        .address_space:  global
        .offset:         0
        .size:           8
        .value_kind:     global_buffer
      - .actual_access:  read_only
        .address_space:  global
        .offset:         8
        .size:           8
        .value_kind:     global_buffer
      - .offset:         16
        .size:           4
        .value_kind:     by_value
      - .offset:         24
        .size:           4
        .value_kind:     hidden_block_count_x
      - .offset:         28
        .size:           4
        .value_kind:     hidden_block_count_y
      - .offset:         32
        .size:           4
        .value_kind:     hidden_block_count_z
      - .offset:         36
        .size:           2
        .value_kind:     hidden_group_size_x
      - .offset:         38
        .size:           2
        .value_kind:     hidden_group_size_y
      - .offset:         40
        .size:           2
        .value_kind:     hidden_group_size_z
      - .offset:         42
        .size:           2
        .value_kind:     hidden_remainder_x
      - .offset:         44
        .size:           2
        .value_kind:     hidden_remainder_y
      - .offset:         46
        .size:           2
        .value_kind:     hidden_remainder_z
      - .offset:         64
        .size:           8
        .value_kind:     hidden_global_offset_x
      - .offset:         72
        .size:           8
        .value_kind:     hidden_global_offset_y
      - .offset:         80
        .size:           8
        .value_kind:     hidden_global_offset_z
      - .offset:         88
        .size:           2
        .value_kind:     hidden_grid_dims
    .group_segment_fixed_size: 0
    .kernarg_segment_align: 8
    .kernarg_segment_size: 280
    .language:       OpenCL C
    .language_version:
      - 2
      - 0
    .max_flat_workgroup_size: 1024
    .name:           _ZN4vllm17activation_kernelIN3c104HalfETnPFT_RKS3_EXadL_ZNS_16gelu_fast_kernelIS2_EES3_S5_EELb0ELb0EEEvPS3_PS4_i
    .private_segment_fixed_size: 0
    .sgpr_count:     24
    .sgpr_spill_count: 0
    .symbol:         _ZN4vllm17activation_kernelIN3c104HalfETnPFT_RKS3_EXadL_ZNS_16gelu_fast_kernelIS2_EES3_S5_EELb0ELb0EEEvPS3_PS4_i.kd
    .uniform_work_group_size: 1
    .uses_dynamic_stack: false
    .vgpr_count:     18
    .vgpr_spill_count: 0
    .wavefront_size: 64
  - .agpr_count:     0
    .args:
      - .actual_access:  write_only
        .address_space:  global
        .offset:         0
        .size:           8
        .value_kind:     global_buffer
      - .actual_access:  read_only
        .address_space:  global
        .offset:         8
        .size:           8
        .value_kind:     global_buffer
      - .offset:         16
        .size:           4
        .value_kind:     by_value
      - .offset:         24
        .size:           4
        .value_kind:     hidden_block_count_x
      - .offset:         28
        .size:           4
        .value_kind:     hidden_block_count_y
      - .offset:         32
        .size:           4
        .value_kind:     hidden_block_count_z
      - .offset:         36
        .size:           2
        .value_kind:     hidden_group_size_x
      - .offset:         38
        .size:           2
        .value_kind:     hidden_group_size_y
      - .offset:         40
        .size:           2
        .value_kind:     hidden_group_size_z
      - .offset:         42
        .size:           2
        .value_kind:     hidden_remainder_x
      - .offset:         44
        .size:           2
        .value_kind:     hidden_remainder_y
      - .offset:         46
        .size:           2
        .value_kind:     hidden_remainder_z
      - .offset:         64
        .size:           8
        .value_kind:     hidden_global_offset_x
      - .offset:         72
        .size:           8
        .value_kind:     hidden_global_offset_y
      - .offset:         80
        .size:           8
        .value_kind:     hidden_global_offset_z
      - .offset:         88
        .size:           2
        .value_kind:     hidden_grid_dims
    .group_segment_fixed_size: 0
    .kernarg_segment_align: 8
    .kernarg_segment_size: 280
    .language:       OpenCL C
    .language_version:
      - 2
      - 0
    .max_flat_workgroup_size: 1024
    .name:           _ZN4vllm17activation_kernelIN3c108BFloat16ETnPFT_RKS3_EXadL_ZNS_16gelu_fast_kernelIS2_EES3_S5_EELb0ELb0EEEvPS3_PS4_i
    .private_segment_fixed_size: 0
    .sgpr_count:     23
    .sgpr_spill_count: 0
    .symbol:         _ZN4vllm17activation_kernelIN3c108BFloat16ETnPFT_RKS3_EXadL_ZNS_16gelu_fast_kernelIS2_EES3_S5_EELb0ELb0EEEvPS3_PS4_i.kd
    .uniform_work_group_size: 1
    .uses_dynamic_stack: false
    .vgpr_count:     20
    .vgpr_spill_count: 0
    .wavefront_size: 64
  - .agpr_count:     0
    .args:
      - .actual_access:  read_only
        .address_space:  global
        .offset:         0
        .size:           8
        .value_kind:     global_buffer
      - .actual_access:  read_only
        .address_space:  global
        .offset:         8
        .size:           8
        .value_kind:     global_buffer
      - .offset:         16
        .size:           4
        .value_kind:     by_value
      - .offset:         24
        .size:           4
        .value_kind:     hidden_block_count_x
      - .offset:         28
        .size:           4
        .value_kind:     hidden_block_count_y
      - .offset:         32
        .size:           4
        .value_kind:     hidden_block_count_z
      - .offset:         36
        .size:           2
        .value_kind:     hidden_group_size_x
      - .offset:         38
        .size:           2
        .value_kind:     hidden_group_size_y
      - .offset:         40
        .size:           2
        .value_kind:     hidden_group_size_z
      - .offset:         42
        .size:           2
        .value_kind:     hidden_remainder_x
      - .offset:         44
        .size:           2
        .value_kind:     hidden_remainder_y
      - .offset:         46
        .size:           2
        .value_kind:     hidden_remainder_z
      - .offset:         64
        .size:           8
        .value_kind:     hidden_global_offset_x
      - .offset:         72
        .size:           8
        .value_kind:     hidden_global_offset_y
      - .offset:         80
        .size:           8
        .value_kind:     hidden_global_offset_z
      - .offset:         88
        .size:           2
        .value_kind:     hidden_grid_dims
      - .offset:         104
        .size:           8
        .value_kind:     hidden_hostcall_buffer
    .group_segment_fixed_size: 0
    .kernarg_segment_align: 8
    .kernarg_segment_size: 280
    .language:       OpenCL C
    .language_version:
      - 2
      - 0
    .max_flat_workgroup_size: 1024
    .name:           _ZN4vllm17activation_kernelIfTnPFT_RKS1_EXadL_ZNS_17gelu_quick_kernelIfEES1_S3_EELb1ELb1EEEvPS1_PS2_i
    .private_segment_fixed_size: 64
    .sgpr_count:     40
    .sgpr_spill_count: 0
    .symbol:         _ZN4vllm17activation_kernelIfTnPFT_RKS1_EXadL_ZNS_17gelu_quick_kernelIfEES1_S3_EELb1ELb1EEEvPS1_PS2_i.kd
    .uniform_work_group_size: 1
    .uses_dynamic_stack: false
    .vgpr_count:     51
    .vgpr_spill_count: 0
    .wavefront_size: 64
  - .agpr_count:     0
    .args:
      - .actual_access:  read_only
        .address_space:  global
        .offset:         0
        .size:           8
        .value_kind:     global_buffer
      - .actual_access:  read_only
        .address_space:  global
        .offset:         8
        .size:           8
        .value_kind:     global_buffer
      - .offset:         16
        .size:           4
        .value_kind:     by_value
      - .offset:         24
        .size:           4
        .value_kind:     hidden_block_count_x
      - .offset:         28
        .size:           4
        .value_kind:     hidden_block_count_y
      - .offset:         32
        .size:           4
        .value_kind:     hidden_block_count_z
      - .offset:         36
        .size:           2
        .value_kind:     hidden_group_size_x
      - .offset:         38
        .size:           2
        .value_kind:     hidden_group_size_y
      - .offset:         40
        .size:           2
        .value_kind:     hidden_group_size_z
      - .offset:         42
        .size:           2
        .value_kind:     hidden_remainder_x
      - .offset:         44
        .size:           2
        .value_kind:     hidden_remainder_y
      - .offset:         46
        .size:           2
        .value_kind:     hidden_remainder_z
      - .offset:         64
        .size:           8
        .value_kind:     hidden_global_offset_x
      - .offset:         72
        .size:           8
        .value_kind:     hidden_global_offset_y
      - .offset:         80
        .size:           8
        .value_kind:     hidden_global_offset_z
      - .offset:         88
        .size:           2
        .value_kind:     hidden_grid_dims
      - .offset:         104
        .size:           8
        .value_kind:     hidden_hostcall_buffer
    .group_segment_fixed_size: 0
    .kernarg_segment_align: 8
    .kernarg_segment_size: 280
    .language:       OpenCL C
    .language_version:
      - 2
      - 0
    .max_flat_workgroup_size: 1024
    .name:           _ZN4vllm17activation_kernelIN3c104HalfETnPFT_RKS3_EXadL_ZNS_17gelu_quick_kernelIS2_EES3_S5_EELb1ELb1EEEvPS3_PS4_i
    .private_segment_fixed_size: 64
    .sgpr_count:     40
    .sgpr_spill_count: 0
    .symbol:         _ZN4vllm17activation_kernelIN3c104HalfETnPFT_RKS3_EXadL_ZNS_17gelu_quick_kernelIS2_EES3_S5_EELb1ELb1EEEvPS3_PS4_i.kd
    .uniform_work_group_size: 1
    .uses_dynamic_stack: false
    .vgpr_count:     51
    .vgpr_spill_count: 0
    .wavefront_size: 64
  - .agpr_count:     0
    .args:
      - .actual_access:  read_only
        .address_space:  global
        .offset:         0
        .size:           8
        .value_kind:     global_buffer
      - .actual_access:  read_only
        .address_space:  global
        .offset:         8
        .size:           8
        .value_kind:     global_buffer
      - .offset:         16
        .size:           4
        .value_kind:     by_value
      - .offset:         24
        .size:           4
        .value_kind:     hidden_block_count_x
      - .offset:         28
        .size:           4
        .value_kind:     hidden_block_count_y
      - .offset:         32
        .size:           4
        .value_kind:     hidden_block_count_z
      - .offset:         36
        .size:           2
        .value_kind:     hidden_group_size_x
      - .offset:         38
        .size:           2
        .value_kind:     hidden_group_size_y
      - .offset:         40
        .size:           2
        .value_kind:     hidden_group_size_z
      - .offset:         42
        .size:           2
        .value_kind:     hidden_remainder_x
      - .offset:         44
        .size:           2
        .value_kind:     hidden_remainder_y
      - .offset:         46
        .size:           2
        .value_kind:     hidden_remainder_z
      - .offset:         64
        .size:           8
        .value_kind:     hidden_global_offset_x
      - .offset:         72
        .size:           8
        .value_kind:     hidden_global_offset_y
      - .offset:         80
        .size:           8
        .value_kind:     hidden_global_offset_z
      - .offset:         88
        .size:           2
        .value_kind:     hidden_grid_dims
      - .offset:         104
        .size:           8
        .value_kind:     hidden_hostcall_buffer
    .group_segment_fixed_size: 0
    .kernarg_segment_align: 8
    .kernarg_segment_size: 280
    .language:       OpenCL C
    .language_version:
      - 2
      - 0
    .max_flat_workgroup_size: 1024
    .name:           _ZN4vllm17activation_kernelIN3c108BFloat16ETnPFT_RKS3_EXadL_ZNS_17gelu_quick_kernelIS2_EES3_S5_EELb1ELb1EEEvPS3_PS4_i
    .private_segment_fixed_size: 64
    .sgpr_count:     40
    .sgpr_spill_count: 0
    .symbol:         _ZN4vllm17activation_kernelIN3c108BFloat16ETnPFT_RKS3_EXadL_ZNS_17gelu_quick_kernelIS2_EES3_S5_EELb1ELb1EEEvPS3_PS4_i.kd
    .uniform_work_group_size: 1
    .uses_dynamic_stack: false
    .vgpr_count:     51
    .vgpr_spill_count: 0
    .wavefront_size: 64
  - .agpr_count:     0
    .args:
      - .actual_access:  write_only
        .address_space:  global
        .offset:         0
        .size:           8
        .value_kind:     global_buffer
      - .actual_access:  read_only
        .address_space:  global
        .offset:         8
        .size:           8
        .value_kind:     global_buffer
      - .offset:         16
        .size:           4
        .value_kind:     by_value
      - .offset:         24
        .size:           4
        .value_kind:     hidden_block_count_x
      - .offset:         28
        .size:           4
        .value_kind:     hidden_block_count_y
      - .offset:         32
        .size:           4
        .value_kind:     hidden_block_count_z
      - .offset:         36
        .size:           2
        .value_kind:     hidden_group_size_x
      - .offset:         38
        .size:           2
        .value_kind:     hidden_group_size_y
      - .offset:         40
        .size:           2
        .value_kind:     hidden_group_size_z
      - .offset:         42
        .size:           2
        .value_kind:     hidden_remainder_x
      - .offset:         44
        .size:           2
        .value_kind:     hidden_remainder_y
      - .offset:         46
        .size:           2
        .value_kind:     hidden_remainder_z
      - .offset:         64
        .size:           8
        .value_kind:     hidden_global_offset_x
      - .offset:         72
        .size:           8
        .value_kind:     hidden_global_offset_y
      - .offset:         80
        .size:           8
        .value_kind:     hidden_global_offset_z
      - .offset:         88
        .size:           2
        .value_kind:     hidden_grid_dims
    .group_segment_fixed_size: 0
    .kernarg_segment_align: 8
    .kernarg_segment_size: 280
    .language:       OpenCL C
    .language_version:
      - 2
      - 0
    .max_flat_workgroup_size: 1024
    .name:           _ZN4vllm17activation_kernelIfTnPFT_RKS1_EXadL_ZNS_17gelu_quick_kernelIfEES1_S3_EELb1ELb0EEEvPS1_PS2_i
    .private_segment_fixed_size: 0
    .sgpr_count:     39
    .sgpr_spill_count: 0
    .symbol:         _ZN4vllm17activation_kernelIfTnPFT_RKS1_EXadL_ZNS_17gelu_quick_kernelIfEES1_S3_EELb1ELb0EEEvPS1_PS2_i.kd
    .uniform_work_group_size: 1
    .uses_dynamic_stack: false
    .vgpr_count:     63
    .vgpr_spill_count: 0
    .wavefront_size: 64
  - .agpr_count:     0
    .args:
      - .actual_access:  write_only
        .address_space:  global
        .offset:         0
        .size:           8
        .value_kind:     global_buffer
      - .actual_access:  read_only
        .address_space:  global
        .offset:         8
        .size:           8
        .value_kind:     global_buffer
      - .offset:         16
        .size:           4
        .value_kind:     by_value
      - .offset:         24
        .size:           4
        .value_kind:     hidden_block_count_x
      - .offset:         28
        .size:           4
        .value_kind:     hidden_block_count_y
      - .offset:         32
        .size:           4
        .value_kind:     hidden_block_count_z
      - .offset:         36
        .size:           2
        .value_kind:     hidden_group_size_x
      - .offset:         38
        .size:           2
        .value_kind:     hidden_group_size_y
      - .offset:         40
        .size:           2
        .value_kind:     hidden_group_size_z
      - .offset:         42
        .size:           2
        .value_kind:     hidden_remainder_x
      - .offset:         44
        .size:           2
        .value_kind:     hidden_remainder_y
      - .offset:         46
        .size:           2
        .value_kind:     hidden_remainder_z
      - .offset:         64
        .size:           8
        .value_kind:     hidden_global_offset_x
      - .offset:         72
        .size:           8
        .value_kind:     hidden_global_offset_y
      - .offset:         80
        .size:           8
        .value_kind:     hidden_global_offset_z
      - .offset:         88
        .size:           2
        .value_kind:     hidden_grid_dims
    .group_segment_fixed_size: 0
    .kernarg_segment_align: 8
    .kernarg_segment_size: 280
    .language:       OpenCL C
    .language_version:
      - 2
      - 0
    .max_flat_workgroup_size: 1024
    .name:           _ZN4vllm17activation_kernelIN3c104HalfETnPFT_RKS3_EXadL_ZNS_17gelu_quick_kernelIS2_EES3_S5_EELb1ELb0EEEvPS3_PS4_i
    .private_segment_fixed_size: 0
    .sgpr_count:     29
    .sgpr_spill_count: 0
    .symbol:         _ZN4vllm17activation_kernelIN3c104HalfETnPFT_RKS3_EXadL_ZNS_17gelu_quick_kernelIS2_EES3_S5_EELb1ELb0EEEvPS3_PS4_i.kd
    .uniform_work_group_size: 1
    .uses_dynamic_stack: false
    .vgpr_count:     58
    .vgpr_spill_count: 0
    .wavefront_size: 64
  - .agpr_count:     0
    .args:
      - .actual_access:  write_only
        .address_space:  global
        .offset:         0
        .size:           8
        .value_kind:     global_buffer
      - .actual_access:  read_only
        .address_space:  global
        .offset:         8
        .size:           8
        .value_kind:     global_buffer
      - .offset:         16
        .size:           4
        .value_kind:     by_value
      - .offset:         24
        .size:           4
        .value_kind:     hidden_block_count_x
      - .offset:         28
        .size:           4
        .value_kind:     hidden_block_count_y
      - .offset:         32
        .size:           4
        .value_kind:     hidden_block_count_z
      - .offset:         36
        .size:           2
        .value_kind:     hidden_group_size_x
      - .offset:         38
        .size:           2
        .value_kind:     hidden_group_size_y
      - .offset:         40
        .size:           2
        .value_kind:     hidden_group_size_z
      - .offset:         42
        .size:           2
        .value_kind:     hidden_remainder_x
      - .offset:         44
        .size:           2
        .value_kind:     hidden_remainder_y
      - .offset:         46
        .size:           2
        .value_kind:     hidden_remainder_z
      - .offset:         64
        .size:           8
        .value_kind:     hidden_global_offset_x
      - .offset:         72
        .size:           8
        .value_kind:     hidden_global_offset_y
      - .offset:         80
        .size:           8
        .value_kind:     hidden_global_offset_z
      - .offset:         88
        .size:           2
        .value_kind:     hidden_grid_dims
    .group_segment_fixed_size: 0
    .kernarg_segment_align: 8
    .kernarg_segment_size: 280
    .language:       OpenCL C
    .language_version:
      - 2
      - 0
    .max_flat_workgroup_size: 1024
    .name:           _ZN4vllm17activation_kernelIN3c108BFloat16ETnPFT_RKS3_EXadL_ZNS_17gelu_quick_kernelIS2_EES3_S5_EELb1ELb0EEEvPS3_PS4_i
    .private_segment_fixed_size: 0
    .sgpr_count:     33
    .sgpr_spill_count: 0
    .symbol:         _ZN4vllm17activation_kernelIN3c108BFloat16ETnPFT_RKS3_EXadL_ZNS_17gelu_quick_kernelIS2_EES3_S5_EELb1ELb0EEEvPS3_PS4_i.kd
    .uniform_work_group_size: 1
    .uses_dynamic_stack: false
    .vgpr_count:     57
    .vgpr_spill_count: 0
    .wavefront_size: 64
  - .agpr_count:     0
    .args:
      - .actual_access:  write_only
        .address_space:  global
        .offset:         0
        .size:           8
        .value_kind:     global_buffer
      - .actual_access:  read_only
        .address_space:  global
        .offset:         8
        .size:           8
        .value_kind:     global_buffer
      - .offset:         16
        .size:           4
        .value_kind:     by_value
      - .offset:         24
        .size:           4
        .value_kind:     hidden_block_count_x
      - .offset:         28
        .size:           4
        .value_kind:     hidden_block_count_y
      - .offset:         32
        .size:           4
        .value_kind:     hidden_block_count_z
      - .offset:         36
        .size:           2
        .value_kind:     hidden_group_size_x
      - .offset:         38
        .size:           2
        .value_kind:     hidden_group_size_y
      - .offset:         40
        .size:           2
        .value_kind:     hidden_group_size_z
      - .offset:         42
        .size:           2
        .value_kind:     hidden_remainder_x
      - .offset:         44
        .size:           2
        .value_kind:     hidden_remainder_y
      - .offset:         46
        .size:           2
        .value_kind:     hidden_remainder_z
      - .offset:         64
        .size:           8
        .value_kind:     hidden_global_offset_x
      - .offset:         72
        .size:           8
        .value_kind:     hidden_global_offset_y
      - .offset:         80
        .size:           8
        .value_kind:     hidden_global_offset_z
      - .offset:         88
        .size:           2
        .value_kind:     hidden_grid_dims
    .group_segment_fixed_size: 0
    .kernarg_segment_align: 8
    .kernarg_segment_size: 280
    .language:       OpenCL C
    .language_version:
      - 2
      - 0
    .max_flat_workgroup_size: 1024
    .name:           _ZN4vllm17activation_kernelIfTnPFT_RKS1_EXadL_ZNS_17gelu_quick_kernelIfEES1_S3_EELb0ELb0EEEvPS1_PS2_i
    .private_segment_fixed_size: 0
    .sgpr_count:     28
    .sgpr_spill_count: 0
    .symbol:         _ZN4vllm17activation_kernelIfTnPFT_RKS1_EXadL_ZNS_17gelu_quick_kernelIfEES1_S3_EELb0ELb0EEEvPS1_PS2_i.kd
    .uniform_work_group_size: 1
    .uses_dynamic_stack: false
    .vgpr_count:     30
    .vgpr_spill_count: 0
    .wavefront_size: 64
  - .agpr_count:     0
    .args:
      - .actual_access:  write_only
        .address_space:  global
        .offset:         0
        .size:           8
        .value_kind:     global_buffer
      - .actual_access:  read_only
        .address_space:  global
        .offset:         8
        .size:           8
        .value_kind:     global_buffer
      - .offset:         16
        .size:           4
        .value_kind:     by_value
      - .offset:         24
        .size:           4
        .value_kind:     hidden_block_count_x
      - .offset:         28
        .size:           4
        .value_kind:     hidden_block_count_y
      - .offset:         32
        .size:           4
        .value_kind:     hidden_block_count_z
      - .offset:         36
        .size:           2
        .value_kind:     hidden_group_size_x
      - .offset:         38
        .size:           2
        .value_kind:     hidden_group_size_y
      - .offset:         40
        .size:           2
        .value_kind:     hidden_group_size_z
      - .offset:         42
        .size:           2
        .value_kind:     hidden_remainder_x
      - .offset:         44
        .size:           2
        .value_kind:     hidden_remainder_y
      - .offset:         46
        .size:           2
        .value_kind:     hidden_remainder_z
      - .offset:         64
        .size:           8
        .value_kind:     hidden_global_offset_x
      - .offset:         72
        .size:           8
        .value_kind:     hidden_global_offset_y
      - .offset:         80
        .size:           8
        .value_kind:     hidden_global_offset_z
      - .offset:         88
        .size:           2
        .value_kind:     hidden_grid_dims
    .group_segment_fixed_size: 0
    .kernarg_segment_align: 8
    .kernarg_segment_size: 280
    .language:       OpenCL C
    .language_version:
      - 2
      - 0
    .max_flat_workgroup_size: 1024
    .name:           _ZN4vllm17activation_kernelIN3c104HalfETnPFT_RKS3_EXadL_ZNS_17gelu_quick_kernelIS2_EES3_S5_EELb0ELb0EEEvPS3_PS4_i
    .private_segment_fixed_size: 0
    .sgpr_count:     31
    .sgpr_spill_count: 0
    .symbol:         _ZN4vllm17activation_kernelIN3c104HalfETnPFT_RKS3_EXadL_ZNS_17gelu_quick_kernelIS2_EES3_S5_EELb0ELb0EEEvPS3_PS4_i.kd
    .uniform_work_group_size: 1
    .uses_dynamic_stack: false
    .vgpr_count:     44
    .vgpr_spill_count: 0
    .wavefront_size: 64
  - .agpr_count:     0
    .args:
      - .actual_access:  write_only
        .address_space:  global
        .offset:         0
        .size:           8
        .value_kind:     global_buffer
      - .actual_access:  read_only
        .address_space:  global
        .offset:         8
        .size:           8
        .value_kind:     global_buffer
      - .offset:         16
        .size:           4
        .value_kind:     by_value
      - .offset:         24
        .size:           4
        .value_kind:     hidden_block_count_x
      - .offset:         28
        .size:           4
        .value_kind:     hidden_block_count_y
      - .offset:         32
        .size:           4
        .value_kind:     hidden_block_count_z
      - .offset:         36
        .size:           2
        .value_kind:     hidden_group_size_x
      - .offset:         38
        .size:           2
        .value_kind:     hidden_group_size_y
      - .offset:         40
        .size:           2
        .value_kind:     hidden_group_size_z
      - .offset:         42
        .size:           2
        .value_kind:     hidden_remainder_x
      - .offset:         44
        .size:           2
        .value_kind:     hidden_remainder_y
      - .offset:         46
        .size:           2
        .value_kind:     hidden_remainder_z
      - .offset:         64
        .size:           8
        .value_kind:     hidden_global_offset_x
      - .offset:         72
        .size:           8
        .value_kind:     hidden_global_offset_y
      - .offset:         80
        .size:           8
        .value_kind:     hidden_global_offset_z
      - .offset:         88
        .size:           2
        .value_kind:     hidden_grid_dims
    .group_segment_fixed_size: 0
    .kernarg_segment_align: 8
    .kernarg_segment_size: 280
    .language:       OpenCL C
    .language_version:
      - 2
      - 0
    .max_flat_workgroup_size: 1024
    .name:           _ZN4vllm17activation_kernelIN3c108BFloat16ETnPFT_RKS3_EXadL_ZNS_17gelu_quick_kernelIS2_EES3_S5_EELb0ELb0EEEvPS3_PS4_i
    .private_segment_fixed_size: 0
    .sgpr_count:     33
    .sgpr_spill_count: 0
    .symbol:         _ZN4vllm17activation_kernelIN3c108BFloat16ETnPFT_RKS3_EXadL_ZNS_17gelu_quick_kernelIS2_EES3_S5_EELb0ELb0EEEvPS3_PS4_i.kd
    .uniform_work_group_size: 1
    .uses_dynamic_stack: false
    .vgpr_count:     45
    .vgpr_spill_count: 0
    .wavefront_size: 64
amdhsa.target:   amdgcn-amd-amdhsa--gfx90a
amdhsa.version:
  - 1
  - 2
...

	.end_amdgpu_metadata
